;; amdgpu-corpus repo=ROCm/rocFFT kind=compiled arch=gfx950 opt=O3
	.text
	.amdgcn_target "amdgcn-amd-amdhsa--gfx950"
	.amdhsa_code_object_version 6
	.protected	fft_rtc_fwd_len289_factors_17_17_wgs_119_tpt_17_dp_ip_CI_sbcc_twdbase5_3step_dirReg_intrinsicReadWrite ; -- Begin function fft_rtc_fwd_len289_factors_17_17_wgs_119_tpt_17_dp_ip_CI_sbcc_twdbase5_3step_dirReg_intrinsicReadWrite
	.globl	fft_rtc_fwd_len289_factors_17_17_wgs_119_tpt_17_dp_ip_CI_sbcc_twdbase5_3step_dirReg_intrinsicReadWrite
	.p2align	8
	.type	fft_rtc_fwd_len289_factors_17_17_wgs_119_tpt_17_dp_ip_CI_sbcc_twdbase5_3step_dirReg_intrinsicReadWrite,@function
fft_rtc_fwd_len289_factors_17_17_wgs_119_tpt_17_dp_ip_CI_sbcc_twdbase5_3step_dirReg_intrinsicReadWrite: ; @fft_rtc_fwd_len289_factors_17_17_wgs_119_tpt_17_dp_ip_CI_sbcc_twdbase5_3step_dirReg_intrinsicReadWrite
; %bb.0:
	s_load_dwordx8 s[4:11], s[0:1], 0x8
	s_movk_i32 s3, 0x60
	v_cmp_gt_u32_e32 vcc, s3, v0
	s_and_saveexec_b64 s[12:13], vcc
	s_cbranch_execz .LBB0_2
; %bb.1:
	v_lshlrev_b32_e32 v1, 4, v0
	s_waitcnt lgkmcnt(0)
	global_load_dwordx4 v[2:5], v1, s[4:5]
	v_add_u32_e32 v1, 0, v1
	v_add_u32_e32 v1, 0x7e70, v1
	s_waitcnt vmcnt(0)
	ds_write2_b64 v1, v[2:3], v[4:5] offset1:1
.LBB0_2:
	s_or_b64 exec, exec, s[12:13]
	s_waitcnt lgkmcnt(0)
	s_load_dwordx2 s[16:17], s[8:9], 0x8
	s_mov_b32 s3, 0
	s_mov_b64 s[22:23], 0
	s_waitcnt lgkmcnt(0)
	s_add_u32 s4, s16, -1
	s_addc_u32 s5, s17, -1
	s_add_u32 s12, 0, 0x92481000
	s_addc_u32 s13, 0, 0x64
	s_mul_hi_u32 s15, s12, -7
	s_add_i32 s13, s13, 0x249248c0
	s_sub_i32 s15, s15, s12
	s_mul_i32 s20, s13, -7
	s_mul_i32 s14, s12, -7
	s_add_i32 s15, s15, s20
	s_mul_hi_u32 s18, s13, s14
	s_mul_i32 s19, s13, s14
	s_mul_i32 s21, s12, s15
	s_mul_hi_u32 s14, s12, s14
	s_mul_hi_u32 s20, s12, s15
	s_add_u32 s14, s14, s21
	s_addc_u32 s20, 0, s20
	s_add_u32 s14, s14, s19
	s_mul_hi_u32 s21, s13, s15
	s_addc_u32 s14, s20, s18
	s_addc_u32 s18, s21, 0
	s_mul_i32 s15, s13, s15
	s_add_u32 s14, s14, s15
	v_mov_b32_e32 v1, s14
	s_addc_u32 s15, 0, s18
	v_add_co_u32_e32 v1, vcc, s12, v1
	s_cmp_lg_u64 vcc, 0
	s_addc_u32 s12, s13, s15
	v_readfirstlane_b32 s15, v1
	s_mul_i32 s14, s4, s12
	s_mul_hi_u32 s18, s4, s15
	s_mul_hi_u32 s13, s4, s12
	s_add_u32 s14, s18, s14
	s_addc_u32 s13, 0, s13
	s_mul_hi_u32 s19, s5, s15
	s_mul_i32 s15, s5, s15
	s_add_u32 s14, s14, s15
	s_mul_hi_u32 s18, s5, s12
	s_addc_u32 s13, s13, s19
	s_addc_u32 s14, s18, 0
	s_mul_i32 s12, s5, s12
	s_add_u32 s12, s13, s12
	s_addc_u32 s13, 0, s14
	s_add_u32 s14, s12, 1
	s_addc_u32 s15, s13, 0
	s_add_u32 s18, s12, 2
	s_mul_i32 s20, s13, 7
	s_mul_hi_u32 s21, s12, 7
	s_addc_u32 s19, s13, 0
	s_add_i32 s21, s21, s20
	s_mul_i32 s20, s12, 7
	v_mov_b32_e32 v1, s20
	v_sub_co_u32_e32 v1, vcc, s4, v1
	s_cmp_lg_u64 vcc, 0
	s_subb_u32 s4, s5, s21
	v_subrev_co_u32_e32 v2, vcc, 7, v1
	s_cmp_lg_u64 vcc, 0
	s_subb_u32 s5, s4, 0
	v_readfirstlane_b32 s20, v2
	s_cmp_gt_u32 s20, 6
	s_cselect_b32 s20, -1, 0
	s_cmp_eq_u32 s5, 0
	s_cselect_b32 s5, s20, -1
	s_cmp_lg_u32 s5, 0
	s_cselect_b32 s5, s18, s14
	s_cselect_b32 s14, s19, s15
	v_readfirstlane_b32 s15, v1
	s_cmp_gt_u32 s15, 6
	s_cselect_b32 s15, -1, 0
	s_cmp_eq_u32 s4, 0
	s_cselect_b32 s4, s15, -1
	s_cmp_lg_u32 s4, 0
	s_cselect_b32 s5, s5, s12
	s_cselect_b32 s4, s14, s13
	s_add_u32 s18, s5, 1
	s_addc_u32 s19, s4, 0
	v_mov_b64_e32 v[2:3], s[18:19]
	v_cmp_lt_u64_e32 vcc, s[2:3], v[2:3]
	s_cbranch_vccnz .LBB0_4
; %bb.3:
	v_cvt_f32_u32_e32 v1, s18
	s_sub_i32 s4, 0, s18
	s_mov_b32 s23, s3
	v_rcp_iflag_f32_e32 v1, v1
	s_nop 0
	v_mul_f32_e32 v1, 0x4f7ffffe, v1
	v_cvt_u32_f32_e32 v1, v1
	s_nop 0
	v_readfirstlane_b32 s5, v1
	s_mul_i32 s4, s4, s5
	s_mul_hi_u32 s4, s5, s4
	s_add_i32 s5, s5, s4
	s_mul_hi_u32 s4, s2, s5
	s_mul_i32 s12, s4, s18
	s_sub_i32 s12, s2, s12
	s_add_i32 s5, s4, 1
	s_sub_i32 s13, s12, s18
	s_cmp_ge_u32 s12, s18
	s_cselect_b32 s4, s5, s4
	s_cselect_b32 s12, s13, s12
	s_add_i32 s5, s4, 1
	s_cmp_ge_u32 s12, s18
	s_cselect_b32 s22, s5, s4
.LBB0_4:
	s_load_dwordx2 s[4:5], s[0:1], 0x58
	s_load_dwordx2 s[54:55], s[0:1], 0x0
	s_load_dwordx4 s[12:15], s[10:11], 0x0
	s_mul_i32 s0, s22, s19
	s_mul_hi_u32 s1, s22, s18
	s_add_i32 s1, s1, s0
	s_mul_i32 s0, s22, s18
	s_sub_u32 s0, s2, s0
	s_subb_u32 s1, 0, s1
	s_mul_i32 s1, s1, 7
	s_waitcnt lgkmcnt(0)
	s_mul_hi_u32 s13, s0, 7
	s_add_i32 s21, s13, s1
	s_mul_i32 s20, s0, 7
	s_mul_i32 s0, s14, s21
	s_mul_hi_u32 s1, s14, s20
	s_add_i32 s0, s1, s0
	s_mul_i32 s1, s15, s20
	s_add_i32 s15, s0, s1
	v_cmp_lt_u64_e64 s[0:1], s[6:7], 3
	s_mul_i32 s13, s14, s20
	s_and_b64 vcc, exec, s[0:1]
	s_cbranch_vccnz .LBB0_14
; %bb.5:
	s_add_u32 s24, s10, 16
	s_addc_u32 s25, s11, 0
	s_add_u32 s8, s8, 16
	s_addc_u32 s9, s9, 0
	s_mov_b64 s[26:27], 2
	s_mov_b32 s28, 0
	v_mov_b64_e32 v[2:3], s[6:7]
.LBB0_6:                                ; =>This Inner Loop Header: Depth=1
	s_load_dwordx2 s[30:31], s[8:9], 0x0
	s_waitcnt lgkmcnt(0)
	s_or_b64 s[0:1], s[22:23], s[30:31]
	s_mov_b32 s29, s1
	s_cmp_lg_u64 s[28:29], 0
	s_cbranch_scc0 .LBB0_11
; %bb.7:                                ;   in Loop: Header=BB0_6 Depth=1
	v_cvt_f32_u32_e32 v1, s30
	v_cvt_f32_u32_e32 v4, s31
	s_sub_u32 s0, 0, s30
	s_subb_u32 s1, 0, s31
	v_fmac_f32_e32 v1, 0x4f800000, v4
	v_rcp_f32_e32 v1, v1
	s_nop 0
	v_mul_f32_e32 v1, 0x5f7ffffc, v1
	v_mul_f32_e32 v4, 0x2f800000, v1
	v_trunc_f32_e32 v4, v4
	v_fmac_f32_e32 v1, 0xcf800000, v4
	v_cvt_u32_f32_e32 v4, v4
	v_cvt_u32_f32_e32 v1, v1
	v_readfirstlane_b32 s29, v4
	v_readfirstlane_b32 s33, v1
	s_mul_i32 s34, s0, s29
	s_mul_hi_u32 s36, s0, s33
	s_mul_i32 s35, s1, s33
	s_add_i32 s34, s36, s34
	s_mul_i32 s37, s0, s33
	s_add_i32 s34, s34, s35
	s_mul_hi_u32 s35, s33, s34
	s_mul_i32 s36, s33, s34
	s_mul_hi_u32 s33, s33, s37
	s_add_u32 s33, s33, s36
	s_addc_u32 s35, 0, s35
	s_mul_hi_u32 s38, s29, s37
	s_mul_i32 s37, s29, s37
	s_add_u32 s33, s33, s37
	s_mul_hi_u32 s36, s29, s34
	s_addc_u32 s33, s35, s38
	s_addc_u32 s35, s36, 0
	s_mul_i32 s34, s29, s34
	s_add_u32 s33, s33, s34
	s_addc_u32 s34, 0, s35
	v_add_co_u32_e32 v1, vcc, s33, v1
	s_cmp_lg_u64 vcc, 0
	s_addc_u32 s29, s29, s34
	v_readfirstlane_b32 s34, v1
	s_mul_i32 s33, s0, s29
	s_mul_hi_u32 s35, s0, s34
	s_add_i32 s33, s35, s33
	s_mul_i32 s1, s1, s34
	s_add_i32 s33, s33, s1
	s_mul_i32 s0, s0, s34
	s_mul_hi_u32 s35, s29, s0
	s_mul_i32 s36, s29, s0
	s_mul_i32 s38, s34, s33
	s_mul_hi_u32 s0, s34, s0
	s_mul_hi_u32 s37, s34, s33
	s_add_u32 s0, s0, s38
	s_addc_u32 s34, 0, s37
	s_add_u32 s0, s0, s36
	s_mul_hi_u32 s1, s29, s33
	s_addc_u32 s0, s34, s35
	s_addc_u32 s1, s1, 0
	s_mul_i32 s33, s29, s33
	s_add_u32 s0, s0, s33
	s_addc_u32 s1, 0, s1
	v_add_co_u32_e32 v1, vcc, s0, v1
	s_cmp_lg_u64 vcc, 0
	s_addc_u32 s0, s29, s1
	v_readfirstlane_b32 s33, v1
	s_mul_i32 s29, s22, s0
	s_mul_hi_u32 s34, s22, s33
	s_mul_hi_u32 s1, s22, s0
	s_add_u32 s29, s34, s29
	s_addc_u32 s1, 0, s1
	s_mul_hi_u32 s35, s23, s33
	s_mul_i32 s33, s23, s33
	s_add_u32 s29, s29, s33
	s_mul_hi_u32 s34, s23, s0
	s_addc_u32 s1, s1, s35
	s_addc_u32 s29, s34, 0
	s_mul_i32 s0, s23, s0
	s_add_u32 s33, s1, s0
	s_addc_u32 s29, 0, s29
	s_mul_i32 s0, s30, s29
	s_mul_hi_u32 s1, s30, s33
	s_add_i32 s0, s1, s0
	s_mul_i32 s1, s31, s33
	s_add_i32 s34, s0, s1
	s_mul_i32 s1, s30, s33
	v_mov_b32_e32 v1, s1
	s_sub_i32 s0, s23, s34
	v_sub_co_u32_e32 v1, vcc, s22, v1
	s_cmp_lg_u64 vcc, 0
	s_subb_u32 s35, s0, s31
	v_subrev_co_u32_e64 v4, s[0:1], s30, v1
	s_cmp_lg_u64 s[0:1], 0
	s_subb_u32 s0, s35, 0
	s_cmp_ge_u32 s0, s31
	v_readfirstlane_b32 s35, v4
	s_cselect_b32 s1, -1, 0
	s_cmp_ge_u32 s35, s30
	s_cselect_b32 s35, -1, 0
	s_cmp_eq_u32 s0, s31
	s_cselect_b32 s0, s35, s1
	s_add_u32 s1, s33, 1
	s_addc_u32 s35, s29, 0
	s_add_u32 s36, s33, 2
	s_addc_u32 s37, s29, 0
	s_cmp_lg_u32 s0, 0
	s_cselect_b32 s0, s36, s1
	s_cselect_b32 s1, s37, s35
	s_cmp_lg_u64 vcc, 0
	s_subb_u32 s34, s23, s34
	s_cmp_ge_u32 s34, s31
	v_readfirstlane_b32 s36, v1
	s_cselect_b32 s35, -1, 0
	s_cmp_ge_u32 s36, s30
	s_cselect_b32 s36, -1, 0
	s_cmp_eq_u32 s34, s31
	s_cselect_b32 s34, s36, s35
	s_cmp_lg_u32 s34, 0
	s_cselect_b32 s1, s1, s29
	s_cselect_b32 s0, s0, s33
	s_cbranch_execnz .LBB0_9
.LBB0_8:                                ;   in Loop: Header=BB0_6 Depth=1
	v_cvt_f32_u32_e32 v1, s30
	s_sub_i32 s0, 0, s30
	v_rcp_iflag_f32_e32 v1, v1
	s_nop 0
	v_mul_f32_e32 v1, 0x4f7ffffe, v1
	v_cvt_u32_f32_e32 v1, v1
	s_nop 0
	v_readfirstlane_b32 s1, v1
	s_mul_i32 s0, s0, s1
	s_mul_hi_u32 s0, s1, s0
	s_add_i32 s1, s1, s0
	s_mul_hi_u32 s0, s22, s1
	s_mul_i32 s29, s0, s30
	s_sub_i32 s29, s22, s29
	s_add_i32 s1, s0, 1
	s_sub_i32 s33, s29, s30
	s_cmp_ge_u32 s29, s30
	s_cselect_b32 s0, s1, s0
	s_cselect_b32 s29, s33, s29
	s_add_i32 s1, s0, 1
	s_cmp_ge_u32 s29, s30
	s_cselect_b32 s0, s1, s0
	s_mov_b32 s1, s28
.LBB0_9:                                ;   in Loop: Header=BB0_6 Depth=1
	s_mul_i32 s19, s30, s19
	s_mul_hi_u32 s29, s30, s18
	s_add_i32 s19, s29, s19
	s_mul_i32 s29, s31, s18
	s_add_i32 s19, s19, s29
	s_mul_i32 s29, s0, s31
	s_mul_hi_u32 s31, s0, s30
	s_load_dwordx2 s[34:35], s[24:25], 0x0
	s_add_i32 s29, s31, s29
	s_mul_i32 s31, s1, s30
	s_mul_i32 s18, s30, s18
	s_add_i32 s29, s29, s31
	s_mul_i32 s30, s0, s30
	s_sub_u32 s22, s22, s30
	s_subb_u32 s23, s23, s29
	s_waitcnt lgkmcnt(0)
	s_mul_i32 s23, s34, s23
	s_mul_hi_u32 s29, s34, s22
	s_add_i32 s23, s29, s23
	s_mul_i32 s29, s35, s22
	s_add_i32 s23, s23, s29
	s_mul_i32 s22, s34, s22
	s_add_u32 s13, s22, s13
	s_addc_u32 s15, s23, s15
	s_add_u32 s26, s26, 1
	s_addc_u32 s27, s27, 0
	;; [unrolled: 2-line block ×3, first 2 shown]
	s_add_u32 s8, s8, 8
	v_cmp_ge_u64_e32 vcc, s[26:27], v[2:3]
	s_addc_u32 s9, s9, 0
	s_cbranch_vccnz .LBB0_12
; %bb.10:                               ;   in Loop: Header=BB0_6 Depth=1
	s_mov_b64 s[22:23], s[0:1]
	s_branch .LBB0_6
.LBB0_11:                               ;   in Loop: Header=BB0_6 Depth=1
                                        ; implicit-def: $sgpr0_sgpr1
	s_branch .LBB0_8
.LBB0_12:
	v_mov_b64_e32 v[2:3], s[18:19]
	v_cmp_lt_u64_e32 vcc, s[2:3], v[2:3]
	s_mov_b64 s[22:23], 0
	s_cbranch_vccnz .LBB0_14
; %bb.13:
	v_cvt_f32_u32_e32 v1, s18
	s_sub_i32 s0, 0, s18
	v_rcp_iflag_f32_e32 v1, v1
	s_nop 0
	v_mul_f32_e32 v1, 0x4f7ffffe, v1
	v_cvt_u32_f32_e32 v1, v1
	s_nop 0
	v_readfirstlane_b32 s1, v1
	s_mul_i32 s0, s0, s1
	s_mul_hi_u32 s0, s1, s0
	s_add_i32 s1, s1, s0
	s_mul_hi_u32 s0, s2, s1
	s_mul_i32 s3, s0, s18
	s_sub_i32 s2, s2, s3
	s_add_i32 s1, s0, 1
	s_sub_i32 s3, s2, s18
	s_cmp_ge_u32 s2, s18
	s_cselect_b32 s0, s1, s0
	s_cselect_b32 s2, s3, s2
	s_add_i32 s1, s0, 1
	s_cmp_ge_u32 s2, s18
	s_cselect_b32 s22, s1, s0
.LBB0_14:
	s_lshl_b64 s[0:1], s[6:7], 3
	s_add_u32 s0, s10, s0
	s_addc_u32 s1, s11, s1
	s_load_dwordx2 s[0:1], s[0:1], 0x0
	s_waitcnt lgkmcnt(0)
	s_mov_b32 s1, 0x24924925
	v_mul_hi_u32 v1, v0, s1
	v_mul_u32_u24_e32 v2, 7, v1
	v_sub_u32_e32 v74, v0, v2
	s_mul_i32 s0, s0, s22
	s_add_u32 s13, s0, s13
	s_add_u32 s0, s20, 7
	v_mov_b32_e32 v75, 0
	s_addc_u32 s1, s21, 0
	v_mov_b64_e32 v[2:3], s[16:17]
	v_lshl_add_u64 v[158:159], s[20:21], 0, v[74:75]
	v_cmp_le_u64_e32 vcc, s[0:1], v[2:3]
	v_mad_u64_u32 v[184:185], s[0:1], s14, v74, 0
	v_cmp_gt_u64_e64 s[0:1], s[16:17], v[158:159]
	v_mov_b64_e32 v[56:57], 0
	s_or_b64 s[56:57], vcc, s[0:1]
	v_mov_b64_e32 v[8:9], v[56:57]
	v_mov_b64_e32 v[6:7], v[56:57]
	s_and_saveexec_b64 s[0:1], s[56:57]
	s_cbranch_execz .LBB0_16
; %bb.15:
	v_mul_lo_u32 v2, s12, v1
	v_add3_u32 v2, s13, v184, v2
	v_mov_b32_e32 v3, v75
	v_lshl_add_u64 v[2:3], v[2:3], 4, s[4:5]
	global_load_dwordx4 v[6:9], v[2:3], off
.LBB0_16:
	s_or_b64 exec, exec, s[0:1]
	v_mov_b64_e32 v[54:55], v[56:57]
	s_and_saveexec_b64 s[0:1], s[56:57]
	s_cbranch_execz .LBB0_18
; %bb.17:
	v_add_u32_e32 v2, 17, v1
	v_mul_lo_u32 v2, s12, v2
	v_add3_u32 v2, s13, v184, v2
	v_mov_b32_e32 v3, 0
	v_lshl_add_u64 v[2:3], v[2:3], 4, s[4:5]
	global_load_dwordx4 v[54:57], v[2:3], off
.LBB0_18:
	s_or_b64 exec, exec, s[0:1]
	v_mov_b64_e32 v[44:45], 0
	v_mov_b64_e32 v[48:49], v[44:45]
	v_mov_b64_e32 v[46:47], v[44:45]
	s_and_saveexec_b64 s[0:1], s[56:57]
	s_cbranch_execz .LBB0_20
; %bb.19:
	v_add_u32_e32 v2, 34, v1
	v_mul_lo_u32 v2, s12, v2
	v_add3_u32 v2, s13, v184, v2
	v_mov_b32_e32 v3, 0
	v_lshl_add_u64 v[2:3], v[2:3], 4, s[4:5]
	global_load_dwordx4 v[46:49], v[2:3], off
.LBB0_20:
	s_or_b64 exec, exec, s[0:1]
	v_mov_b64_e32 v[42:43], v[44:45]
	s_and_saveexec_b64 s[0:1], s[56:57]
	s_cbranch_execz .LBB0_22
; %bb.21:
	v_add_u32_e32 v2, 51, v1
	v_mul_lo_u32 v2, s12, v2
	v_add3_u32 v2, s13, v184, v2
	v_mov_b32_e32 v3, 0
	v_lshl_add_u64 v[2:3], v[2:3], 4, s[4:5]
	global_load_dwordx4 v[42:45], v[2:3], off
.LBB0_22:
	s_or_b64 exec, exec, s[0:1]
	v_mov_b64_e32 v[28:29], 0
	v_mov_b64_e32 v[36:37], v[28:29]
	v_mov_b64_e32 v[34:35], v[28:29]
	s_and_saveexec_b64 s[0:1], s[56:57]
	s_cbranch_execz .LBB0_24
; %bb.23:
	v_add_u32_e32 v2, 0x44, v1
	v_mul_lo_u32 v2, s12, v2
	v_add3_u32 v2, s13, v184, v2
	v_mov_b32_e32 v3, 0
	v_lshl_add_u64 v[2:3], v[2:3], 4, s[4:5]
	global_load_dwordx4 v[34:37], v[2:3], off
.LBB0_24:
	;; [unrolled: 26-line block ×7, first 2 shown]
	s_or_b64 exec, exec, s[0:1]
	v_mov_b64_e32 v[66:67], v[68:69]
	s_and_saveexec_b64 s[0:1], s[56:57]
	s_cbranch_execz .LBB0_46
; %bb.45:
	v_add_u32_e32 v2, 0xff, v1
	v_mul_lo_u32 v2, s12, v2
	v_add3_u32 v2, s13, v184, v2
	v_mov_b32_e32 v3, 0
	v_lshl_add_u64 v[2:3], v[2:3], 4, s[4:5]
	global_load_dwordx4 v[66:69], v[2:3], off
.LBB0_46:
	s_or_b64 exec, exec, s[0:1]
	v_mov_b64_e32 v[72:73], 0
	v_mov_b64_e32 v[70:71], v[72:73]
	s_and_saveexec_b64 s[0:1], s[56:57]
	s_cbranch_execz .LBB0_48
; %bb.47:
	v_add_u32_e32 v2, 0x110, v1
	v_mul_lo_u32 v2, s12, v2
	v_add3_u32 v2, s13, v184, v2
	v_mov_b32_e32 v3, 0
	v_lshl_add_u64 v[2:3], v[2:3], 4, s[4:5]
	global_load_dwordx4 v[70:73], v[2:3], off
.LBB0_48:
	s_or_b64 exec, exec, s[0:1]
	s_waitcnt vmcnt(0)
	v_add_f64 v[2:3], v[6:7], v[54:55]
	v_add_f64 v[4:5], v[8:9], v[56:57]
	;; [unrolled: 1-line block ×26, first 2 shown]
	s_mov_b32 s0, 0x370991
	s_mov_b32 s2, 0x75d4884
	;; [unrolled: 1-line block ×8, first 2 shown]
	v_add_f64 v[2:3], v[2:3], v[62:63]
	v_add_f64 v[4:5], v[4:5], v[64:65]
	;; [unrolled: 1-line block ×3, first 2 shown]
	s_mov_b32 s1, 0x3fedd6d0
	s_mov_b32 s38, 0x5d8e7cdc
	s_mov_b32 s3, 0x3fe7a5f6
	s_mov_b32 s46, 0x2a9d6da3
	s_mov_b32 s7, 0x3fdc86fa
	s_mov_b32 s40, 0x7c9e640b
	s_mov_b32 s9, 0x3fb79ee6
	s_mov_b32 s52, 0xeb564b22
	s_mov_b32 s11, 0xbfd183b1
	s_mov_b32 s42, 0x923c349f
	s_mov_b32 s15, 0xbfe348c8
	s_mov_b32 s50, 0x6c9a05f6
	s_mov_b32 s17, 0xbfeb34fa
	s_mov_b32 s44, 0x4363dd80
	s_mov_b32 s19, 0xbfef7484
	s_mov_b32 s48, 0xacd6c6b4
	v_add_f64 v[2:3], v[2:3], v[66:67]
	v_add_f64 v[4:5], v[4:5], v[68:69]
	v_add_f64 v[92:93], v[54:55], -v[70:71]
	v_add_f64 v[76:77], v[56:57], -v[72:73]
	v_add_f64 v[82:83], v[26:27], v[50:51]
	v_add_f64 v[80:81], v[26:27], -v[50:51]
	v_add_f64 v[88:89], v[22:23], v[38:39]
	;; [unrolled: 2-line block ×4, first 2 shown]
	v_add_f64 v[108:109], v[14:15], -v[10:11]
	s_mov_b32 s39, 0x3fd71e95
	s_mov_b32 s21, 0xbfd71e95
	s_mov_b32 s20, s38
	v_mul_f64 v[10:11], v[98:99], s[0:1]
	s_mov_b32 s47, 0x3fe58eea
	s_mov_b32 s23, 0xbfe58eea
	s_mov_b32 s22, s46
	v_mul_f64 v[14:15], v[98:99], s[2:3]
	;; [unrolled: 4-line block ×7, first 2 shown]
	v_mul_f64 v[130:131], v[98:99], s[18:19]
	s_mov_b32 s49, 0x3fc7851a
	s_mov_b32 s37, 0xbfc7851a
	;; [unrolled: 1-line block ×3, first 2 shown]
	v_add_f64 v[2:3], v[2:3], v[70:71]
	v_add_f64 v[4:5], v[4:5], v[72:73]
	;; [unrolled: 1-line block ×5, first 2 shown]
	v_add_f64 v[56:57], v[46:47], -v[66:67]
	v_add_f64 v[46:47], v[48:49], -v[68:69]
	v_add_f64 v[68:69], v[42:43], v[62:63]
	v_add_f64 v[48:49], v[44:45], v[64:65]
	v_add_f64 v[66:67], v[42:43], -v[62:63]
	v_add_f64 v[62:63], v[44:45], -v[64:65]
	v_add_f64 v[78:79], v[34:35], v[58:59]
	v_add_f64 v[64:65], v[36:37], v[60:61]
	v_add_f64 v[72:73], v[34:35], -v[58:59]
	v_add_f64 v[58:59], v[36:37], -v[60:61]
	v_add_f64 v[60:61], v[28:29], v[52:53]
	v_add_f64 v[50:51], v[28:29], -v[52:53]
	v_add_f64 v[52:53], v[24:25], v[40:41]
	;; [unrolled: 2-line block ×4, first 2 shown]
	v_add_f64 v[106:107], v[16:17], -v[12:13]
	v_fma_f64 v[12:13], s[38:39], v[76:77], v[10:11]
	v_fmac_f64_e32 v[10:11], s[20:21], v[76:77]
	v_fma_f64 v[16:17], s[46:47], v[76:77], v[14:15]
	v_fmac_f64_e32 v[14:15], s[22:23], v[76:77]
	;; [unrolled: 2-line block ×8, first 2 shown]
	v_mul_f64 v[30:31], v[92:93], s[20:21]
	v_mul_f64 v[34:35], v[92:93], s[22:23]
	;; [unrolled: 1-line block ×6, first 2 shown]
	v_fma_f64 v[32:33], s[0:1], v[90:91], v[30:31]
	v_fma_f64 v[30:31], v[90:91], s[0:1], -v[30:31]
	v_fma_f64 v[36:37], s[2:3], v[90:91], v[34:35]
	v_fma_f64 v[34:35], v[90:91], s[2:3], -v[34:35]
	v_fma_f64 v[40:41], s[6:7], v[90:91], v[38:39]
	v_fma_f64 v[44:45], s[8:9], v[90:91], v[42:43]
	v_fma_f64 v[42:43], v[90:91], s[8:9], -v[42:43]
	v_fma_f64 v[118:119], s[10:11], v[90:91], v[76:77]
	v_fma_f64 v[122:123], s[14:15], v[90:91], v[120:121]
	v_mul_f64 v[124:125], v[92:93], s[34:35]
	v_mul_f64 v[92:93], v[92:93], s[36:37]
	v_fma_f64 v[38:39], v[90:91], s[6:7], -v[38:39]
	v_fma_f64 v[76:77], v[90:91], s[10:11], -v[76:77]
	;; [unrolled: 1-line block ×3, first 2 shown]
	v_fma_f64 v[132:133], s[16:17], v[90:91], v[124:125]
	v_fma_f64 v[134:135], v[90:91], s[16:17], -v[124:125]
	v_fma_f64 v[136:137], s[18:19], v[90:91], v[92:93]
	v_fma_f64 v[138:139], v[90:91], s[18:19], -v[92:93]
	v_add_f64 v[12:13], v[6:7], v[12:13]
	v_add_f64 v[140:141], v[8:9], v[32:33]
	;; [unrolled: 1-line block ×25, first 2 shown]
	v_mul_f64 v[6:7], v[70:71], s[2:3]
	v_add_f64 v[156:157], v[8:9], v[38:39]
	v_add_f64 v[38:39], v[8:9], v[76:77]
	;; [unrolled: 1-line block ×7, first 2 shown]
	v_fma_f64 v[8:9], s[46:47], v[46:47], v[6:7]
	v_mul_f64 v[18:19], v[56:57], s[22:23]
	v_mul_f64 v[20:21], v[68:69], s[6:7]
	v_add_f64 v[8:9], v[8:9], v[12:13]
	v_fma_f64 v[10:11], s[2:3], v[54:55], v[18:19]
	v_fma_f64 v[12:13], s[40:41], v[62:63], v[20:21]
	v_mul_f64 v[22:23], v[66:67], s[24:25]
	v_add_f64 v[10:11], v[10:11], v[140:141]
	v_add_f64 v[8:9], v[12:13], v[8:9]
	v_fma_f64 v[12:13], s[6:7], v[48:49], v[22:23]
	v_mul_f64 v[24:25], v[78:79], s[8:9]
	v_add_f64 v[10:11], v[12:13], v[10:11]
	v_fma_f64 v[12:13], s[52:53], v[58:59], v[24:25]
	v_mul_f64 v[26:27], v[72:73], s[26:27]
	;; [unrolled: 3-line block ×5, first 2 shown]
	v_fmac_f64_e32 v[6:7], s[22:23], v[46:47]
	v_add_f64 v[10:11], v[12:13], v[10:11]
	v_fma_f64 v[12:13], s[50:51], v[84:85], v[130:131]
	v_mul_f64 v[132:133], v[86:87], s[30:31]
	v_add_f64 v[6:7], v[6:7], v[142:143]
	v_fma_f64 v[18:19], v[54:55], s[2:3], -v[18:19]
	v_fmac_f64_e32 v[20:21], s[24:25], v[62:63]
	v_add_f64 v[8:9], v[12:13], v[8:9]
	v_fma_f64 v[12:13], s[14:15], v[52:53], v[132:133]
	v_mul_f64 v[134:135], v[102:103], s[16:17]
	v_add_f64 v[18:19], v[18:19], v[144:145]
	v_add_f64 v[6:7], v[20:21], v[6:7]
	v_fma_f64 v[20:21], v[48:49], s[6:7], -v[22:23]
	v_add_f64 v[10:11], v[12:13], v[10:11]
	v_fma_f64 v[12:13], s[44:45], v[96:97], v[134:135]
	v_mul_f64 v[136:137], v[100:101], s[34:35]
	v_add_f64 v[18:19], v[20:21], v[18:19]
	v_fma_f64 v[20:21], v[64:65], s[8:9], -v[26:27]
	v_add_f64 v[8:9], v[12:13], v[8:9]
	v_fma_f64 v[12:13], s[16:17], v[94:95], v[136:137]
	v_mul_f64 v[138:139], v[110:111], s[18:19]
	v_add_f64 v[18:19], v[20:21], v[18:19]
	v_fma_f64 v[20:21], v[60:61], s[10:11], -v[128:129]
	v_add_f64 v[12:13], v[12:13], v[10:11]
	v_fma_f64 v[10:11], s[48:49], v[106:107], v[138:139]
	v_add_f64 v[18:19], v[20:21], v[18:19]
	v_fma_f64 v[20:21], v[52:53], s[14:15], -v[132:133]
	v_add_f64 v[10:11], v[10:11], v[8:9]
	v_mul_f64 v[8:9], v[108:109], s[36:37]
	v_add_f64 v[18:19], v[20:21], v[18:19]
	v_fma_f64 v[20:21], v[94:95], s[16:17], -v[136:137]
	v_fma_f64 v[140:141], s[18:19], v[104:105], v[8:9]
	v_fmac_f64_e32 v[24:25], s[26:27], v[58:59]
	v_add_f64 v[18:19], v[20:21], v[18:19]
	v_fma_f64 v[8:9], v[104:105], s[18:19], -v[8:9]
	v_mul_f64 v[22:23], v[70:71], s[8:9]
	v_add_f64 v[6:7], v[24:25], v[6:7]
	v_fmac_f64_e32 v[28:29], s[28:29], v[50:51]
	v_add_f64 v[8:9], v[8:9], v[18:19]
	v_fma_f64 v[18:19], s[52:53], v[46:47], v[22:23]
	v_mul_f64 v[24:25], v[56:57], s[26:27]
	v_mul_f64 v[26:27], v[68:69], s[14:15]
	v_add_f64 v[6:7], v[28:29], v[6:7]
	v_add_f64 v[16:17], v[18:19], v[16:17]
	v_fma_f64 v[18:19], s[8:9], v[54:55], v[24:25]
	v_fma_f64 v[20:21], s[50:51], v[62:63], v[26:27]
	v_mul_f64 v[28:29], v[66:67], s[30:31]
	v_fmac_f64_e32 v[130:131], s[30:31], v[84:85]
	v_add_f64 v[18:19], v[18:19], v[146:147]
	v_add_f64 v[16:17], v[20:21], v[16:17]
	v_fma_f64 v[20:21], s[14:15], v[48:49], v[28:29]
	v_mul_f64 v[128:129], v[78:79], s[18:19]
	v_add_f64 v[6:7], v[130:131], v[6:7]
	v_add_f64 v[18:19], v[20:21], v[18:19]
	v_fma_f64 v[20:21], s[48:49], v[58:59], v[128:129]
	v_mul_f64 v[130:131], v[72:73], s[36:37]
	v_fmac_f64_e32 v[134:135], s[34:35], v[96:97]
	v_add_f64 v[16:17], v[20:21], v[16:17]
	v_fma_f64 v[20:21], s[18:19], v[64:65], v[130:131]
	v_mul_f64 v[132:133], v[82:83], s[16:17]
	v_add_f64 v[6:7], v[134:135], v[6:7]
	v_add_f64 v[18:19], v[20:21], v[18:19]
	v_fma_f64 v[20:21], s[34:35], v[50:51], v[132:133]
	v_mul_f64 v[134:135], v[80:81], s[44:45]
	v_fmac_f64_e32 v[138:139], s[36:37], v[106:107]
	v_add_f64 v[16:17], v[20:21], v[16:17]
	v_fma_f64 v[20:21], s[16:17], v[60:61], v[134:135]
	v_mul_f64 v[136:137], v[88:89], s[10:11]
	v_fmac_f64_e32 v[22:23], s[26:27], v[46:47]
	v_add_f64 v[6:7], v[138:139], v[6:7]
	v_add_f64 v[18:19], v[20:21], v[18:19]
	v_fma_f64 v[20:21], s[28:29], v[84:85], v[136:137]
	v_mul_f64 v[138:139], v[86:87], s[42:43]
	v_add_f64 v[14:15], v[22:23], v[14:15]
	v_fma_f64 v[22:23], v[54:55], s[8:9], -v[24:25]
	v_add_f64 v[12:13], v[140:141], v[12:13]
	v_add_f64 v[16:17], v[20:21], v[16:17]
	v_fma_f64 v[20:21], s[10:11], v[52:53], v[138:139]
	v_mul_f64 v[140:141], v[102:103], s[6:7]
	v_add_f64 v[22:23], v[22:23], v[148:149]
	v_fma_f64 v[24:25], v[48:49], s[14:15], -v[28:29]
	v_add_f64 v[18:19], v[20:21], v[18:19]
	v_fma_f64 v[20:21], s[24:25], v[96:97], v[140:141]
	v_mul_f64 v[142:143], v[100:101], s[40:41]
	v_add_f64 v[22:23], v[24:25], v[22:23]
	v_fma_f64 v[24:25], v[64:65], s[18:19], -v[130:131]
	;; [unrolled: 5-line block ×3, first 2 shown]
	v_add_f64 v[20:21], v[20:21], v[18:19]
	v_fma_f64 v[18:19], s[20:21], v[106:107], v[144:145]
	v_add_f64 v[22:23], v[24:25], v[22:23]
	v_fma_f64 v[24:25], v[52:53], s[10:11], -v[138:139]
	v_add_f64 v[18:19], v[18:19], v[16:17]
	v_mul_f64 v[16:17], v[108:109], s[38:39]
	v_add_f64 v[22:23], v[24:25], v[22:23]
	v_fma_f64 v[24:25], v[94:95], s[6:7], -v[142:143]
	v_fma_f64 v[146:147], s[0:1], v[104:105], v[16:17]
	v_fmac_f64_e32 v[26:27], s[30:31], v[62:63]
	v_add_f64 v[22:23], v[24:25], v[22:23]
	v_fma_f64 v[16:17], v[104:105], s[0:1], -v[16:17]
	v_add_f64 v[14:15], v[26:27], v[14:15]
	v_fmac_f64_e32 v[128:129], s[36:37], v[58:59]
	v_add_f64 v[16:17], v[16:17], v[22:23]
	v_mul_f64 v[22:23], v[70:71], s[14:15]
	v_add_f64 v[14:15], v[128:129], v[14:15]
	v_fmac_f64_e32 v[132:133], s[44:45], v[50:51]
	v_fma_f64 v[24:25], s[50:51], v[46:47], v[22:23]
	v_mul_f64 v[128:129], v[56:57], s[30:31]
	v_mul_f64 v[130:131], v[68:69], s[18:19]
	v_add_f64 v[14:15], v[132:133], v[14:15]
	v_add_f64 v[24:25], v[24:25], v[150:151]
	v_fma_f64 v[26:27], s[14:15], v[54:55], v[128:129]
	v_fma_f64 v[28:29], s[36:37], v[62:63], v[130:131]
	v_mul_f64 v[132:133], v[66:67], s[48:49]
	v_fmac_f64_e32 v[136:137], s[42:43], v[84:85]
	v_add_f64 v[26:27], v[26:27], v[152:153]
	v_add_f64 v[24:25], v[28:29], v[24:25]
	v_fma_f64 v[28:29], s[18:19], v[48:49], v[132:133]
	v_mul_f64 v[134:135], v[78:79], s[10:11]
	v_add_f64 v[14:15], v[136:137], v[14:15]
	v_add_f64 v[26:27], v[28:29], v[26:27]
	v_fma_f64 v[28:29], s[28:29], v[58:59], v[134:135]
	v_mul_f64 v[136:137], v[72:73], s[42:43]
	v_fmac_f64_e32 v[140:141], s[40:41], v[96:97]
	v_add_f64 v[24:25], v[28:29], v[24:25]
	v_fma_f64 v[28:29], s[10:11], v[64:65], v[136:137]
	v_mul_f64 v[138:139], v[82:83], s[2:3]
	v_add_f64 v[14:15], v[140:141], v[14:15]
	v_add_f64 v[26:27], v[28:29], v[26:27]
	v_fma_f64 v[28:29], s[22:23], v[50:51], v[138:139]
	v_mul_f64 v[140:141], v[80:81], s[46:47]
	v_fmac_f64_e32 v[144:145], s[38:39], v[106:107]
	v_add_f64 v[24:25], v[28:29], v[24:25]
	v_fma_f64 v[28:29], s[2:3], v[60:61], v[140:141]
	v_mul_f64 v[142:143], v[88:89], s[0:1]
	v_fmac_f64_e32 v[22:23], s[30:31], v[46:47]
	v_add_f64 v[14:15], v[144:145], v[14:15]
	v_add_f64 v[26:27], v[28:29], v[26:27]
	v_fma_f64 v[28:29], s[38:39], v[84:85], v[142:143]
	v_mul_f64 v[144:145], v[86:87], s[20:21]
	v_add_f64 v[22:23], v[22:23], v[154:155]
	v_fma_f64 v[128:129], v[54:55], s[14:15], -v[128:129]
	v_fmac_f64_e32 v[130:131], s[48:49], v[62:63]
	v_add_f64 v[20:21], v[146:147], v[20:21]
	v_add_f64 v[24:25], v[28:29], v[24:25]
	v_fma_f64 v[28:29], s[0:1], v[52:53], v[144:145]
	v_mul_f64 v[146:147], v[102:103], s[8:9]
	v_add_f64 v[128:129], v[128:129], v[156:157]
	v_add_f64 v[22:23], v[130:131], v[22:23]
	v_fma_f64 v[130:131], v[48:49], s[18:19], -v[132:133]
	v_add_f64 v[26:27], v[28:29], v[26:27]
	v_fma_f64 v[28:29], s[52:53], v[96:97], v[146:147]
	v_mul_f64 v[148:149], v[100:101], s[26:27]
	v_add_f64 v[128:129], v[130:131], v[128:129]
	v_fma_f64 v[130:131], v[64:65], s[10:11], -v[136:137]
	v_add_f64 v[24:25], v[28:29], v[24:25]
	v_fma_f64 v[28:29], s[8:9], v[94:95], v[148:149]
	v_mul_f64 v[150:151], v[110:111], s[16:17]
	v_add_f64 v[128:129], v[130:131], v[128:129]
	v_fma_f64 v[130:131], v[60:61], s[2:3], -v[140:141]
	v_add_f64 v[28:29], v[28:29], v[26:27]
	v_fma_f64 v[26:27], s[44:45], v[106:107], v[150:151]
	v_add_f64 v[128:129], v[130:131], v[128:129]
	v_fma_f64 v[130:131], v[52:53], s[0:1], -v[144:145]
	v_add_f64 v[26:27], v[26:27], v[24:25]
	v_mul_f64 v[24:25], v[108:109], s[34:35]
	v_add_f64 v[128:129], v[130:131], v[128:129]
	v_fma_f64 v[130:131], v[94:95], s[8:9], -v[148:149]
	v_fma_f64 v[152:153], s[16:17], v[104:105], v[24:25]
	v_add_f64 v[128:129], v[130:131], v[128:129]
	v_fma_f64 v[24:25], v[104:105], s[16:17], -v[24:25]
	v_add_f64 v[24:25], v[24:25], v[128:129]
	v_mul_f64 v[128:129], v[70:71], s[18:19]
	v_fma_f64 v[130:131], s[48:49], v[46:47], v[128:129]
	v_add_f64 v[36:37], v[130:131], v[36:37]
	v_mul_f64 v[130:131], v[56:57], s[36:37]
	v_fma_f64 v[132:133], s[18:19], v[54:55], v[130:131]
	v_fmac_f64_e32 v[134:135], s[42:43], v[58:59]
	v_add_f64 v[34:35], v[132:133], v[34:35]
	v_mul_f64 v[132:133], v[68:69], s[10:11]
	v_add_f64 v[22:23], v[134:135], v[22:23]
	v_fma_f64 v[134:135], s[28:29], v[62:63], v[132:133]
	v_add_f64 v[36:37], v[134:135], v[36:37]
	v_mul_f64 v[134:135], v[66:67], s[42:43]
	v_fma_f64 v[136:137], s[10:11], v[48:49], v[134:135]
	v_fmac_f64_e32 v[138:139], s[46:47], v[50:51]
	v_add_f64 v[34:35], v[136:137], v[34:35]
	v_mul_f64 v[136:137], v[78:79], s[0:1]
	v_add_f64 v[22:23], v[138:139], v[22:23]
	;; [unrolled: 8-line block ×4, first 2 shown]
	v_fma_f64 v[146:147], s[44:45], v[84:85], v[144:145]
	v_add_f64 v[36:37], v[146:147], v[36:37]
	v_mul_f64 v[146:147], v[86:87], s[34:35]
	v_fmac_f64_e32 v[128:129], s[36:37], v[46:47]
	v_fma_f64 v[148:149], s[16:17], v[52:53], v[146:147]
	v_add_f64 v[32:33], v[128:129], v[32:33]
	v_fma_f64 v[128:129], v[54:55], s[18:19], -v[130:131]
	v_fmac_f64_e32 v[132:133], s[42:43], v[62:63]
	v_fmac_f64_e32 v[150:151], s[34:35], v[106:107]
	v_add_f64 v[34:35], v[148:149], v[34:35]
	v_mul_f64 v[148:149], v[102:103], s[14:15]
	v_add_f64 v[30:31], v[128:129], v[30:31]
	v_add_f64 v[32:33], v[132:133], v[32:33]
	v_fma_f64 v[128:129], v[48:49], s[10:11], -v[134:135]
	v_fmac_f64_e32 v[136:137], s[38:39], v[58:59]
	v_add_f64 v[22:23], v[150:151], v[22:23]
	v_fma_f64 v[150:151], s[30:31], v[96:97], v[148:149]
	v_add_f64 v[30:31], v[128:129], v[30:31]
	v_add_f64 v[32:33], v[136:137], v[32:33]
	v_fma_f64 v[128:129], v[64:65], s[0:1], -v[138:139]
	v_fmac_f64_e32 v[140:141], s[24:25], v[50:51]
	v_add_f64 v[36:37], v[150:151], v[36:37]
	v_mul_f64 v[150:151], v[100:101], s[50:51]
	v_add_f64 v[30:31], v[128:129], v[30:31]
	v_add_f64 v[32:33], v[140:141], v[32:33]
	v_fma_f64 v[128:129], v[60:61], s[6:7], -v[142:143]
	v_fmac_f64_e32 v[144:145], s[34:35], v[84:85]
	v_add_f64 v[28:29], v[152:153], v[28:29]
	v_fma_f64 v[152:153], s[14:15], v[94:95], v[150:151]
	v_mul_f64 v[154:155], v[110:111], s[2:3]
	v_add_f64 v[30:31], v[128:129], v[30:31]
	v_add_f64 v[32:33], v[144:145], v[32:33]
	v_fma_f64 v[128:129], v[52:53], s[16:17], -v[146:147]
	v_fmac_f64_e32 v[148:149], s[50:51], v[96:97]
	v_add_f64 v[152:153], v[152:153], v[34:35]
	v_fma_f64 v[34:35], s[22:23], v[106:107], v[154:155]
	v_mul_f64 v[156:157], v[108:109], s[46:47]
	v_add_f64 v[30:31], v[128:129], v[30:31]
	v_add_f64 v[32:33], v[148:149], v[32:33]
	v_fma_f64 v[128:129], v[94:95], s[14:15], -v[150:151]
	v_fmac_f64_e32 v[154:155], s[46:47], v[106:107]
	v_add_f64 v[128:129], v[128:129], v[30:31]
	v_add_f64 v[30:31], v[154:155], v[32:33]
	v_fma_f64 v[32:33], v[104:105], s[2:3], -v[156:157]
	v_add_f64 v[32:33], v[32:33], v[128:129]
	v_mul_f64 v[128:129], v[70:71], s[16:17]
	v_fma_f64 v[130:131], s[34:35], v[46:47], v[128:129]
	v_add_f64 v[44:45], v[130:131], v[44:45]
	v_mul_f64 v[130:131], v[56:57], s[44:45]
	v_fma_f64 v[132:133], s[16:17], v[54:55], v[130:131]
	;; [unrolled: 3-line block ×9, first 2 shown]
	v_add_f64 v[44:45], v[146:147], v[44:45]
	v_mul_f64 v[146:147], v[86:87], s[52:53]
	v_fmac_f64_e32 v[128:129], s[44:45], v[46:47]
	v_fma_f64 v[148:149], s[8:9], v[52:53], v[146:147]
	v_add_f64 v[40:41], v[128:129], v[40:41]
	v_fma_f64 v[128:129], v[54:55], s[16:17], -v[130:131]
	v_fmac_f64_e32 v[132:133], s[46:47], v[62:63]
	v_add_f64 v[42:43], v[148:149], v[42:43]
	v_mul_f64 v[148:149], v[102:103], s[0:1]
	v_add_f64 v[38:39], v[128:129], v[38:39]
	v_add_f64 v[40:41], v[132:133], v[40:41]
	v_fma_f64 v[128:129], v[48:49], s[2:3], -v[134:135]
	v_fmac_f64_e32 v[136:137], s[24:25], v[58:59]
	v_fma_f64 v[150:151], s[38:39], v[96:97], v[148:149]
	v_add_f64 v[38:39], v[128:129], v[38:39]
	v_add_f64 v[40:41], v[136:137], v[40:41]
	v_fma_f64 v[128:129], v[64:65], s[6:7], -v[138:139]
	v_fmac_f64_e32 v[140:141], s[36:37], v[50:51]
	v_add_f64 v[34:35], v[34:35], v[36:37]
	v_fma_f64 v[36:37], s[2:3], v[104:105], v[156:157]
	v_add_f64 v[44:45], v[150:151], v[44:45]
	v_mul_f64 v[150:151], v[100:101], s[20:21]
	v_add_f64 v[38:39], v[128:129], v[38:39]
	v_add_f64 v[40:41], v[140:141], v[40:41]
	v_fma_f64 v[128:129], v[60:61], s[18:19], -v[142:143]
	v_fmac_f64_e32 v[144:145], s[52:53], v[84:85]
	v_add_f64 v[36:37], v[36:37], v[152:153]
	v_fma_f64 v[152:153], s[0:1], v[94:95], v[150:151]
	v_mul_f64 v[154:155], v[110:111], s[14:15]
	v_add_f64 v[38:39], v[128:129], v[38:39]
	v_add_f64 v[40:41], v[144:145], v[40:41]
	v_fma_f64 v[128:129], v[52:53], s[8:9], -v[146:147]
	v_fmac_f64_e32 v[148:149], s[20:21], v[96:97]
	v_add_f64 v[152:153], v[152:153], v[42:43]
	v_fma_f64 v[42:43], s[50:51], v[106:107], v[154:155]
	v_mul_f64 v[156:157], v[108:109], s[30:31]
	v_add_f64 v[38:39], v[128:129], v[38:39]
	v_add_f64 v[40:41], v[148:149], v[40:41]
	v_fma_f64 v[128:129], v[94:95], s[0:1], -v[150:151]
	v_fmac_f64_e32 v[154:155], s[30:31], v[106:107]
	v_add_f64 v[128:129], v[128:129], v[38:39]
	v_add_f64 v[38:39], v[154:155], v[40:41]
	v_fma_f64 v[40:41], v[104:105], s[14:15], -v[156:157]
	v_add_f64 v[40:41], v[40:41], v[128:129]
	v_mul_f64 v[128:129], v[70:71], s[10:11]
	v_fma_f64 v[130:131], s[28:29], v[46:47], v[128:129]
	v_add_f64 v[126:127], v[130:131], v[126:127]
	v_mul_f64 v[130:131], v[56:57], s[42:43]
	v_fma_f64 v[132:133], s[10:11], v[54:55], v[130:131]
	v_add_f64 v[124:125], v[132:133], v[124:125]
	v_mul_f64 v[132:133], v[68:69], s[0:1]
	v_fma_f64 v[134:135], s[38:39], v[62:63], v[132:133]
	v_add_f64 v[126:127], v[134:135], v[126:127]
	v_mul_f64 v[134:135], v[66:67], s[20:21]
	v_fma_f64 v[136:137], s[0:1], v[48:49], v[134:135]
	v_add_f64 v[124:125], v[136:137], v[124:125]
	v_mul_f64 v[136:137], v[78:79], s[16:17]
	v_fma_f64 v[138:139], s[44:45], v[58:59], v[136:137]
	v_add_f64 v[126:127], v[138:139], v[126:127]
	v_mul_f64 v[138:139], v[72:73], s[34:35]
	v_fma_f64 v[140:141], s[16:17], v[64:65], v[138:139]
	v_add_f64 v[124:125], v[140:141], v[124:125]
	v_mul_f64 v[140:141], v[82:83], s[8:9]
	v_fma_f64 v[142:143], s[26:27], v[50:51], v[140:141]
	v_add_f64 v[126:127], v[142:143], v[126:127]
	v_mul_f64 v[142:143], v[80:81], s[52:53]
	v_fma_f64 v[144:145], s[8:9], v[60:61], v[142:143]
	v_add_f64 v[124:125], v[144:145], v[124:125]
	v_mul_f64 v[144:145], v[88:89], s[2:3]
	v_fma_f64 v[146:147], s[46:47], v[84:85], v[144:145]
	v_add_f64 v[126:127], v[146:147], v[126:127]
	v_mul_f64 v[146:147], v[86:87], s[22:23]
	v_fmac_f64_e32 v[128:129], s[42:43], v[46:47]
	v_fma_f64 v[148:149], s[2:3], v[52:53], v[146:147]
	v_add_f64 v[122:123], v[128:129], v[122:123]
	v_fma_f64 v[128:129], v[54:55], s[10:11], -v[130:131]
	v_fmac_f64_e32 v[132:133], s[20:21], v[62:63]
	v_add_f64 v[124:125], v[148:149], v[124:125]
	v_mul_f64 v[148:149], v[102:103], s[18:19]
	v_add_f64 v[120:121], v[128:129], v[120:121]
	v_add_f64 v[122:123], v[132:133], v[122:123]
	v_fma_f64 v[128:129], v[48:49], s[0:1], -v[134:135]
	v_fmac_f64_e32 v[136:137], s[34:35], v[58:59]
	v_fma_f64 v[150:151], s[48:49], v[96:97], v[148:149]
	v_add_f64 v[120:121], v[128:129], v[120:121]
	v_add_f64 v[122:123], v[136:137], v[122:123]
	v_fma_f64 v[128:129], v[64:65], s[16:17], -v[138:139]
	v_fmac_f64_e32 v[140:141], s[52:53], v[50:51]
	v_add_f64 v[42:43], v[42:43], v[44:45]
	v_fma_f64 v[44:45], s[14:15], v[104:105], v[156:157]
	v_add_f64 v[126:127], v[150:151], v[126:127]
	v_mul_f64 v[150:151], v[100:101], s[36:37]
	v_add_f64 v[120:121], v[128:129], v[120:121]
	v_add_f64 v[122:123], v[140:141], v[122:123]
	v_fma_f64 v[128:129], v[60:61], s[8:9], -v[142:143]
	v_fmac_f64_e32 v[144:145], s[22:23], v[84:85]
	v_add_f64 v[44:45], v[44:45], v[152:153]
	v_fma_f64 v[152:153], s[18:19], v[94:95], v[150:151]
	v_mul_f64 v[154:155], v[110:111], s[6:7]
	v_add_f64 v[120:121], v[128:129], v[120:121]
	v_add_f64 v[122:123], v[144:145], v[122:123]
	v_fma_f64 v[128:129], v[52:53], s[2:3], -v[146:147]
	v_fmac_f64_e32 v[148:149], s[36:37], v[96:97]
	v_add_f64 v[152:153], v[152:153], v[124:125]
	v_fma_f64 v[124:125], s[24:25], v[106:107], v[154:155]
	v_mul_f64 v[156:157], v[108:109], s[40:41]
	v_add_f64 v[120:121], v[128:129], v[120:121]
	v_add_f64 v[122:123], v[148:149], v[122:123]
	v_fma_f64 v[128:129], v[94:95], s[18:19], -v[150:151]
	v_fmac_f64_e32 v[154:155], s[40:41], v[106:107]
	v_add_f64 v[128:129], v[128:129], v[120:121]
	v_add_f64 v[120:121], v[154:155], v[122:123]
	v_fma_f64 v[122:123], v[104:105], s[6:7], -v[156:157]
	v_add_f64 v[122:123], v[122:123], v[128:129]
	v_mul_f64 v[128:129], v[70:71], s[6:7]
	v_fma_f64 v[130:131], s[24:25], v[46:47], v[128:129]
	v_add_f64 v[118:119], v[130:131], v[118:119]
	v_mul_f64 v[130:131], v[56:57], s[40:41]
	v_fma_f64 v[132:133], s[6:7], v[54:55], v[130:131]
	v_add_f64 v[116:117], v[132:133], v[116:117]
	v_mul_f64 v[132:133], v[68:69], s[8:9]
	v_fma_f64 v[134:135], s[52:53], v[62:63], v[132:133]
	v_add_f64 v[118:119], v[134:135], v[118:119]
	v_mul_f64 v[134:135], v[66:67], s[26:27]
	v_fma_f64 v[136:137], s[8:9], v[48:49], v[134:135]
	v_add_f64 v[116:117], v[136:137], v[116:117]
	v_mul_f64 v[136:137], v[78:79], s[14:15]
	v_fma_f64 v[138:139], s[30:31], v[58:59], v[136:137]
	v_add_f64 v[118:119], v[138:139], v[118:119]
	v_mul_f64 v[138:139], v[72:73], s[50:51]
	v_fma_f64 v[140:141], s[14:15], v[64:65], v[138:139]
	v_add_f64 v[116:117], v[140:141], v[116:117]
	v_mul_f64 v[140:141], v[82:83], s[0:1]
	v_fma_f64 v[142:143], s[38:39], v[50:51], v[140:141]
	v_add_f64 v[118:119], v[142:143], v[118:119]
	v_mul_f64 v[142:143], v[80:81], s[20:21]
	v_fma_f64 v[144:145], s[0:1], v[60:61], v[142:143]
	v_add_f64 v[116:117], v[144:145], v[116:117]
	v_mul_f64 v[144:145], v[88:89], s[18:19]
	v_fma_f64 v[146:147], s[48:49], v[84:85], v[144:145]
	v_add_f64 v[118:119], v[146:147], v[118:119]
	v_mul_f64 v[146:147], v[86:87], s[36:37]
	v_fmac_f64_e32 v[128:129], s[40:41], v[46:47]
	v_fma_f64 v[148:149], s[18:19], v[52:53], v[146:147]
	v_add_f64 v[114:115], v[128:129], v[114:115]
	v_fma_f64 v[128:129], v[54:55], s[6:7], -v[130:131]
	v_fmac_f64_e32 v[132:133], s[26:27], v[62:63]
	v_add_f64 v[116:117], v[148:149], v[116:117]
	v_mul_f64 v[148:149], v[102:103], s[2:3]
	v_add_f64 v[112:113], v[128:129], v[112:113]
	v_add_f64 v[114:115], v[132:133], v[114:115]
	v_fma_f64 v[128:129], v[48:49], s[8:9], -v[134:135]
	v_fmac_f64_e32 v[136:137], s[50:51], v[58:59]
	v_fma_f64 v[150:151], s[22:23], v[96:97], v[148:149]
	v_add_f64 v[112:113], v[128:129], v[112:113]
	v_add_f64 v[114:115], v[136:137], v[114:115]
	v_fma_f64 v[128:129], v[64:65], s[14:15], -v[138:139]
	v_fmac_f64_e32 v[140:141], s[20:21], v[50:51]
	v_add_f64 v[124:125], v[124:125], v[126:127]
	v_fma_f64 v[126:127], s[6:7], v[104:105], v[156:157]
	v_add_f64 v[118:119], v[150:151], v[118:119]
	v_mul_f64 v[150:151], v[100:101], s[46:47]
	v_add_f64 v[112:113], v[128:129], v[112:113]
	v_add_f64 v[114:115], v[140:141], v[114:115]
	v_fma_f64 v[128:129], v[60:61], s[0:1], -v[142:143]
	v_fmac_f64_e32 v[144:145], s[36:37], v[84:85]
	v_add_f64 v[126:127], v[126:127], v[152:153]
	v_fma_f64 v[152:153], s[2:3], v[94:95], v[150:151]
	v_mul_f64 v[154:155], v[110:111], s[10:11]
	v_add_f64 v[112:113], v[128:129], v[112:113]
	v_add_f64 v[114:115], v[144:145], v[114:115]
	v_fma_f64 v[128:129], v[52:53], s[18:19], -v[146:147]
	v_fmac_f64_e32 v[148:149], s[46:47], v[96:97]
	v_add_f64 v[152:153], v[152:153], v[116:117]
	v_fma_f64 v[116:117], s[42:43], v[106:107], v[154:155]
	v_mul_f64 v[156:157], v[108:109], s[28:29]
	v_add_f64 v[112:113], v[128:129], v[112:113]
	v_add_f64 v[114:115], v[148:149], v[114:115]
	v_fma_f64 v[128:129], v[94:95], s[2:3], -v[150:151]
	v_fmac_f64_e32 v[154:155], s[28:29], v[106:107]
	v_add_f64 v[128:129], v[128:129], v[112:113]
	v_add_f64 v[112:113], v[154:155], v[114:115]
	v_fma_f64 v[114:115], v[104:105], s[10:11], -v[156:157]
	v_mul_f64 v[70:71], v[70:71], s[0:1]
	v_add_f64 v[114:115], v[114:115], v[128:129]
	v_fma_f64 v[128:129], s[20:21], v[46:47], v[70:71]
	v_mul_f64 v[56:57], v[56:57], s[38:39]
	v_add_f64 v[98:99], v[128:129], v[98:99]
	v_fma_f64 v[128:129], s[0:1], v[54:55], v[56:57]
	v_add_f64 v[92:93], v[128:129], v[92:93]
	v_mul_f64 v[128:129], v[68:69], s[16:17]
	v_fma_f64 v[68:69], s[44:45], v[62:63], v[128:129]
	v_add_f64 v[68:69], v[68:69], v[98:99]
	v_mul_f64 v[98:99], v[66:67], s[34:35]
	v_fma_f64 v[66:67], s[16:17], v[48:49], v[98:99]
	v_mul_f64 v[78:79], v[78:79], s[2:3]
	v_add_f64 v[66:67], v[66:67], v[92:93]
	v_fma_f64 v[92:93], s[22:23], v[58:59], v[78:79]
	v_mul_f64 v[72:73], v[72:73], s[46:47]
	v_add_f64 v[68:69], v[92:93], v[68:69]
	;; [unrolled: 3-line block ×4, first 2 shown]
	v_fma_f64 v[92:93], s[14:15], v[60:61], v[80:81]
	v_mul_f64 v[88:89], v[88:89], s[6:7]
	v_fmac_f64_e32 v[70:71], s[38:39], v[46:47]
	v_add_f64 v[66:67], v[92:93], v[66:67]
	v_fma_f64 v[92:93], s[24:25], v[84:85], v[88:89]
	v_mul_f64 v[86:87], v[86:87], s[40:41]
	v_add_f64 v[46:47], v[70:71], v[90:91]
	v_fma_f64 v[54:55], v[54:55], s[0:1], -v[56:57]
	v_fmac_f64_e32 v[128:129], s[34:35], v[62:63]
	v_add_f64 v[68:69], v[92:93], v[68:69]
	v_fma_f64 v[92:93], s[6:7], v[52:53], v[86:87]
	v_add_f64 v[54:55], v[54:55], v[76:77]
	v_add_f64 v[46:47], v[128:129], v[46:47]
	v_fma_f64 v[48:49], v[48:49], s[16:17], -v[98:99]
	v_fmac_f64_e32 v[78:79], s[46:47], v[58:59]
	v_add_f64 v[66:67], v[92:93], v[66:67]
	v_mul_f64 v[92:93], v[102:103], s[10:11]
	v_add_f64 v[48:49], v[48:49], v[54:55]
	v_add_f64 v[46:47], v[78:79], v[46:47]
	v_fma_f64 v[54:55], v[64:65], s[2:3], -v[72:73]
	v_fmac_f64_e32 v[82:83], s[30:31], v[50:51]
	v_fma_f64 v[102:103], s[42:43], v[96:97], v[92:93]
	v_mul_f64 v[100:101], v[100:101], s[28:29]
	v_add_f64 v[48:49], v[54:55], v[48:49]
	v_add_f64 v[46:47], v[82:83], v[46:47]
	v_fma_f64 v[50:51], v[60:61], s[14:15], -v[80:81]
	v_fmac_f64_e32 v[88:89], s[40:41], v[84:85]
	v_add_f64 v[68:69], v[102:103], v[68:69]
	v_fma_f64 v[102:103], s[10:11], v[94:95], v[100:101]
	v_mul_f64 v[110:111], v[110:111], s[8:9]
	v_add_f64 v[48:49], v[50:51], v[48:49]
	v_add_f64 v[46:47], v[88:89], v[46:47]
	v_fma_f64 v[50:51], v[52:53], s[6:7], -v[86:87]
	v_fmac_f64_e32 v[92:93], s[28:29], v[96:97]
	v_add_f64 v[102:103], v[102:103], v[66:67]
	v_fma_f64 v[66:67], s[26:27], v[106:107], v[110:111]
	v_add_f64 v[48:49], v[50:51], v[48:49]
	v_add_f64 v[46:47], v[92:93], v[46:47]
	v_fma_f64 v[50:51], v[94:95], s[10:11], -v[100:101]
	v_fmac_f64_e32 v[110:111], s[52:53], v[106:107]
	v_mul_f64 v[108:109], v[108:109], s[52:53]
	v_add_f64 v[50:51], v[50:51], v[48:49]
	v_add_f64 v[48:49], v[110:111], v[46:47]
	v_mul_u32_u24_e32 v47, 0x770, v1
	v_lshlrev_b32_e32 v46, 4, v74
	v_add_f64 v[116:117], v[116:117], v[118:119]
	v_fma_f64 v[118:119], s[10:11], v[104:105], v[156:157]
	v_add_f64 v[66:67], v[66:67], v[68:69]
	v_fma_f64 v[68:69], s[8:9], v[104:105], v[108:109]
	v_fma_f64 v[52:53], v[104:105], s[8:9], -v[108:109]
	v_add3_u32 v47, 0, v47, v46
	v_add_f64 v[118:119], v[118:119], v[152:153]
	v_add_f64 v[68:69], v[68:69], v[102:103]
	;; [unrolled: 1-line block ×3, first 2 shown]
	ds_write_b128 v47, v[2:5]
	ds_write_b128 v47, v[10:13] offset:112
	ds_write_b128 v47, v[18:21] offset:224
	;; [unrolled: 1-line block ×16, first 2 shown]
	s_waitcnt lgkmcnt(0)
	s_barrier
	s_and_saveexec_b64 s[58:59], s[56:57]
	s_cbranch_execz .LBB0_50
; %bb.49:
	s_mov_b32 s33, 0x226b903
	v_mul_hi_u32 v0, v0, s33
	s_mov_b32 s33, 0xf0f0f10
	v_mul_hi_u32 v2, v1, s33
	v_mul_u32_u24_e32 v2, 17, v2
	v_sub_u32_e32 v2, v1, v2
	s_movk_i32 s33, 0x121
	v_mad_u32_u24 v185, v0, s33, v2
	v_mov_b32_e32 v4, v2
	v_mul_u32_u24_e32 v0, 0x70, v1
	v_add3_u32 v48, 0, v0, v46
	v_lshlrev_b32_e32 v46, 8, v4
	ds_read_b128 v[0:3], v48 offset:15232
	v_mov_b32_e32 v49, v4
	global_load_dwordx4 v[4:7], v46, s[54:55] offset:112
	global_load_dwordx4 v[8:11], v46, s[54:55] offset:96
	global_load_dwordx4 v[12:15], v46, s[54:55] offset:80
	global_load_dwordx4 v[16:19], v46, s[54:55] offset:64
	s_add_i32 s33, 0, 0x7e70
	v_accvgpr_write_b32 a40, v49
	v_accvgpr_write_b32 a94, v158
	s_waitcnt vmcnt(3) lgkmcnt(0)
	v_mul_f64 v[20:21], v[0:1], v[6:7]
	v_fmac_f64_e32 v[20:21], v[2:3], v[4:5]
	v_mov_b64_e32 v[34:35], v[20:21]
	ds_read_b128 v[20:23], v48 offset:17136
	global_load_dwordx4 v[24:27], v46, s[54:55] offset:176
	global_load_dwordx4 v[38:41], v46, s[54:55] offset:160
	;; [unrolled: 1-line block ×4, first 2 shown]
	v_mul_f64 v[2:3], v[2:3], v[6:7]
	v_fma_f64 v[2:3], v[0:1], v[4:5], -v[2:3]
	v_mov_b64_e32 v[68:69], v[2:3]
	v_mov_b64_e32 v[84:85], v[34:35]
	v_accvgpr_write_b32 a48, v84
	v_accvgpr_write_b32 a49, v85
	;; [unrolled: 1-line block ×4, first 2 shown]
	ds_read_b128 v[4:7], v48 offset:19040
	s_waitcnt vmcnt(0) lgkmcnt(1)
	v_mul_f64 v[0:1], v[22:23], v[30:31]
	v_fma_f64 v[0:1], v[20:21], v[28:29], -v[0:1]
	v_add_f64 v[132:133], v[2:3], -v[0:1]
	v_mov_b64_e32 v[66:67], v[0:1]
	ds_read_b128 v[0:3], v48 offset:13328
	v_mul_f64 v[36:37], v[20:21], v[30:31]
	v_fmac_f64_e32 v[36:37], v[22:23], v[28:29]
	s_waitcnt lgkmcnt(1)
	v_mul_f64 v[22:23], v[4:5], v[44:45]
	v_fmac_f64_e32 v[22:23], v[6:7], v[42:43]
	s_waitcnt lgkmcnt(0)
	v_mul_f64 v[20:21], v[0:1], v[10:11]
	v_fmac_f64_e32 v[20:21], v[2:3], v[8:9]
	v_mul_f64 v[2:3], v[2:3], v[10:11]
	v_fma_f64 v[2:3], v[0:1], v[8:9], -v[2:3]
	v_mul_f64 v[0:1], v[6:7], v[44:45]
	v_fma_f64 v[0:1], v[4:5], v[42:43], -v[0:1]
	v_add_f64 v[136:137], v[2:3], -v[0:1]
	v_mov_b64_e32 v[72:73], v[2:3]
	v_mov_b64_e32 v[70:71], v[0:1]
	ds_read_b128 v[0:3], v48 offset:11424
	ds_read_b128 v[4:7], v48 offset:20944
	v_add_f64 v[32:33], v[34:35], v[36:37]
	v_mul_f64 v[34:35], v[32:33], s[18:19]
	v_mov_b64_e32 v[82:83], v[36:37]
	s_waitcnt lgkmcnt(1)
	v_mul_f64 v[10:11], v[0:1], v[14:15]
	v_fmac_f64_e32 v[10:11], v[2:3], v[12:13]
	v_mul_f64 v[2:3], v[2:3], v[14:15]
	v_fma_f64 v[2:3], v[0:1], v[12:13], -v[2:3]
	s_waitcnt lgkmcnt(0)
	v_mul_f64 v[0:1], v[6:7], v[40:41]
	v_fma_f64 v[0:1], v[4:5], v[38:39], -v[0:1]
	v_add_f64 v[140:141], v[2:3], -v[0:1]
	v_mov_b64_e32 v[76:77], v[2:3]
	v_mov_b64_e32 v[74:75], v[0:1]
	ds_read_b128 v[0:3], v48 offset:9520
	v_mul_f64 v[8:9], v[4:5], v[40:41]
	v_fmac_f64_e32 v[8:9], v[6:7], v[38:39]
	ds_read_b128 v[4:7], v48 offset:22848
	v_accvgpr_write_b32 a4, v34
	v_add_f64 v[36:37], v[10:11], v[8:9]
	v_mov_b64_e32 v[92:93], v[10:11]
	s_waitcnt lgkmcnt(1)
	v_mul_f64 v[10:11], v[0:1], v[18:19]
	v_fma_f64 v[28:29], s[48:49], v[132:133], v[34:35]
	v_accvgpr_write_b32 a5, v35
	v_add_f64 v[34:35], v[20:21], v[22:23]
	v_mov_b64_e32 v[90:91], v[8:9]
	v_mul_f64 v[8:9], v[36:37], s[14:15]
	v_fmac_f64_e32 v[10:11], v[2:3], v[16:17]
	v_mul_f64 v[2:3], v[2:3], v[18:19]
	v_mov_b64_e32 v[88:89], v[20:21]
	v_mul_f64 v[20:21], v[34:35], s[16:17]
	v_accvgpr_write_b32 a8, v8
	v_fma_f64 v[2:3], v[0:1], v[16:17], -v[2:3]
	ds_read_b128 v[16:19], v48 offset:7616
	s_waitcnt lgkmcnt(1)
	v_mul_f64 v[0:1], v[6:7], v[26:27]
	v_accvgpr_write_b32 a6, v20
	v_fma_f64 v[62:63], s[50:51], v[140:141], v[8:9]
	v_accvgpr_write_b32 a9, v9
	v_mul_f64 v[8:9], v[4:5], v[26:27]
	v_fma_f64 v[0:1], v[4:5], v[24:25], -v[0:1]
	v_mov_b64_e32 v[86:87], v[22:23]
	v_fma_f64 v[30:31], s[44:45], v[136:137], v[20:21]
	v_accvgpr_write_b32 a7, v21
	v_fmac_f64_e32 v[8:9], v[6:7], v[24:25]
	v_add_f64 v[144:145], v[2:3], -v[0:1]
	v_mov_b64_e32 v[80:81], v[2:3]
	v_mov_b64_e32 v[78:79], v[0:1]
	global_load_dwordx4 v[50:53], v46, s[54:55] offset:48
	global_load_dwordx4 v[20:23], v46, s[54:55] offset:32
	;; [unrolled: 1-line block ×3, first 2 shown]
	global_load_dwordx4 v[0:3], v46, s[54:55]
	v_add_f64 v[38:39], v[10:11], v[8:9]
	v_mov_b64_e32 v[94:95], v[8:9]
	v_mul_f64 v[8:9], v[38:39], s[10:11]
	v_accvgpr_write_b32 a11, v9
	v_fma_f64 v[64:65], s[42:43], v[144:145], v[8:9]
	v_accvgpr_write_b32 a10, v8
	v_mov_b64_e32 v[96:97], v[10:11]
	ds_read_b128 v[54:57], v48 offset:24752
	v_add_f64 v[148:149], v[68:69], v[66:67]
	v_add_f64 v[152:153], v[72:73], v[70:71]
	;; [unrolled: 1-line block ×4, first 2 shown]
	v_accvgpr_write_b32 a64, v96
	v_accvgpr_write_b32 a65, v97
	;; [unrolled: 1-line block ×3, first 2 shown]
	v_mul_f64 v[124:125], v[34:35], s[6:7]
	v_accvgpr_write_b32 a23, v79
	v_mul_f64 v[142:143], v[32:33], s[0:1]
	v_mul_f64 v[242:243], v[38:39], s[2:3]
	;; [unrolled: 1-line block ×3, first 2 shown]
	v_accvgpr_write_b32 a20, v74
	v_accvgpr_write_b32 a21, v75
	v_mul_f64 v[254:255], v[38:39], s[6:7]
	v_mul_f64 v[252:253], v[36:37], s[16:17]
	;; [unrolled: 1-line block ×7, first 2 shown]
	v_accvgpr_write_b32 a16, v70
	v_accvgpr_write_b32 a17, v71
	;; [unrolled: 1-line block ×14, first 2 shown]
	v_mul_f64 v[126:127], v[38:39], s[0:1]
	v_accvgpr_write_b32 a24, v76
	v_mul_f64 v[128:129], v[36:37], s[18:19]
	v_accvgpr_write_b32 a25, v77
	;; [unrolled: 2-line block ×3, first 2 shown]
	v_accvgpr_write_b32 a19, v73
	v_accvgpr_write_b32 a12, v66
	;; [unrolled: 1-line block ×5, first 2 shown]
	s_waitcnt vmcnt(3) lgkmcnt(1)
	v_mul_f64 v[8:9], v[16:17], v[52:53]
	v_fmac_f64_e32 v[8:9], v[18:19], v[50:51]
	v_mov_b64_e32 v[42:43], v[8:9]
	global_load_dwordx4 v[8:11], v46, s[54:55] offset:240
	global_load_dwordx4 v[12:15], v46, s[54:55] offset:224
	;; [unrolled: 1-line block ×4, first 2 shown]
	v_mul_f64 v[18:19], v[18:19], v[52:53]
	v_fma_f64 v[18:19], v[16:17], v[50:51], -v[18:19]
	ds_read_b128 v[50:53], v48 offset:5712
	v_mov_b64_e32 v[100:101], v[42:43]
	v_accvgpr_write_b32 a68, v100
	v_accvgpr_write_b32 a69, v101
	s_movk_i32 s54, 0xffef
	v_mul_lo_u32 v78, v158, s54
	s_waitcnt vmcnt(0) lgkmcnt(1)
	v_mul_f64 v[44:45], v[54:55], v[60:61]
	v_mul_f64 v[16:17], v[56:57], v[60:61]
	v_fmac_f64_e32 v[44:45], v[56:57], v[58:59]
	v_fma_f64 v[16:17], v[54:55], v[58:59], -v[16:17]
	ds_read_b128 v[54:57], v48 offset:26656
	v_add_f64 v[182:183], v[18:19], -v[16:17]
	v_mov_b64_e32 v[60:61], v[18:19]
	s_waitcnt lgkmcnt(1)
	v_mul_f64 v[18:19], v[50:51], v[22:23]
	v_add_f64 v[40:41], v[42:43], v[44:45]
	v_fmac_f64_e32 v[18:19], v[52:53], v[20:21]
	v_mov_b64_e32 v[98:99], v[44:45]
	v_mul_f64 v[42:43], v[40:41], s[8:9]
	v_mov_b64_e32 v[44:45], v[18:19]
	s_waitcnt lgkmcnt(0)
	v_mul_f64 v[18:19], v[54:55], v[26:27]
	v_accvgpr_write_b32 a91, v43
	v_fmac_f64_e32 v[18:19], v[56:57], v[24:25]
	v_mov_b64_e32 v[58:59], v[16:17]
	v_fma_f64 v[16:17], s[52:53], v[182:183], v[42:43]
	v_accvgpr_write_b32 a90, v42
	v_add_f64 v[42:43], v[44:45], v[18:19]
	v_mov_b64_e32 v[104:105], v[18:19]
	v_mul_f64 v[18:19], v[52:53], v[22:23]
	v_fma_f64 v[20:21], v[50:51], v[20:21], -v[18:19]
	v_mul_f64 v[18:19], v[56:57], v[26:27]
	v_fma_f64 v[18:19], v[54:55], v[24:25], -v[18:19]
	v_add_f64 v[186:187], v[20:21], -v[18:19]
	v_mov_b64_e32 v[54:55], v[20:21]
	v_mov_b64_e32 v[52:53], v[18:19]
	ds_read_b128 v[18:21], v48 offset:3808
	v_mov_b64_e32 v[106:107], v[44:45]
	v_mul_f64 v[44:45], v[42:43], s[6:7]
	v_accvgpr_write_b32 a93, v45
	v_fma_f64 v[26:27], s[40:41], v[186:187], v[44:45]
	s_waitcnt lgkmcnt(0)
	v_mul_f64 v[22:23], v[18:19], v[6:7]
	v_fmac_f64_e32 v[22:23], v[20:21], v[4:5]
	v_accvgpr_write_b32 a92, v44
	v_mov_b64_e32 v[44:45], v[22:23]
	ds_read_b128 v[22:25], v48 offset:28560
	v_mul_f64 v[6:7], v[20:21], v[6:7]
	v_fma_f64 v[6:7], v[18:19], v[4:5], -v[6:7]
	v_mov_b64_e32 v[116:117], v[44:45]
	v_mov_b64_e32 v[108:109], v[6:7]
	s_waitcnt lgkmcnt(0)
	v_mul_f64 v[46:47], v[22:23], v[14:15]
	v_fmac_f64_e32 v[46:47], v[24:25], v[12:13]
	v_add_f64 v[166:167], v[44:45], v[46:47]
	v_mul_f64 v[4:5], v[24:25], v[14:15]
	v_mul_f64 v[44:45], v[166:167], s[2:3]
	v_fma_f64 v[4:5], v[22:23], v[12:13], -v[4:5]
	v_add_f64 v[190:191], v[6:7], -v[4:5]
	v_accvgpr_write_b32 a97, v45
	v_mov_b64_e32 v[112:113], v[46:47]
	v_mov_b64_e32 v[56:57], v[4:5]
	v_fma_f64 v[4:5], s[46:47], v[190:191], v[44:45]
	v_accvgpr_write_b32 a96, v44
	ds_read_b128 v[44:47], v48
	ds_read_b128 v[12:15], v48 offset:1904
	ds_read_b128 v[18:21], v48 offset:30464
	v_add_f64 v[50:51], v[96:97], -v[94:95]
	v_add_f64 v[164:165], v[100:101], -v[98:99]
	;; [unrolled: 1-line block ×3, first 2 shown]
	s_waitcnt lgkmcnt(1)
	v_mul_f64 v[188:189], v[12:13], v[2:3]
	s_waitcnt lgkmcnt(0)
	v_mul_f64 v[146:147], v[18:19], v[10:11]
	v_mul_f64 v[2:3], v[14:15], v[2:3]
	v_fmac_f64_e32 v[188:189], v[14:15], v[0:1]
	v_fmac_f64_e32 v[146:147], v[20:21], v[8:9]
	v_fma_f64 v[2:3], v[12:13], v[0:1], -v[2:3]
	v_mul_f64 v[0:1], v[20:21], v[10:11]
	v_add_f64 v[102:103], v[188:189], v[146:147]
	v_fma_f64 v[0:1], v[18:19], v[8:9], -v[0:1]
	v_mul_f64 v[6:7], v[102:103], s[0:1]
	v_add_f64 v[194:195], v[2:3], -v[0:1]
	v_mov_b64_e32 v[110:111], v[0:1]
	v_fma_f64 v[0:1], s[38:39], v[194:195], v[6:7]
	v_add_f64 v[0:1], v[46:47], v[0:1]
	v_add_f64 v[0:1], v[4:5], v[0:1]
	;; [unrolled: 1-line block ×8, first 2 shown]
	v_add_u32_e32 v0, 0x110, v49
	v_accvgpr_write_b32 a99, v7
	v_mul_lo_u32 v30, v0, v158
	v_accvgpr_write_b32 a98, v6
	v_and_b32_e32 v6, 31, v30
	v_lshl_add_u32 v6, v6, 4, 0
	v_lshrrev_b32_e32 v0, 6, v30
	ds_read_b128 v[8:11], v6 offset:32368
	v_lshrrev_b32_e32 v6, 1, v30
	v_and_b32_e32 v0, 0x1f0, v0
	v_and_b32_e32 v6, 0x1f0, v6
	v_add_u32_e32 v0, s33, v0
	v_add_u32_e32 v6, s33, v6
	v_mov_b64_e32 v[114:115], v[2:3]
	ds_read_b128 v[0:3], v0 offset:1024
	ds_read_b128 v[12:15], v6 offset:512
	v_add_f64 v[64:65], v[84:85], -v[82:83]
	v_add_f64 v[20:21], v[88:89], -v[86:87]
	;; [unrolled: 1-line block ×4, first 2 shown]
	s_waitcnt lgkmcnt(0)
	v_mul_f64 v[6:7], v[10:11], v[14:15]
	v_fma_f64 v[6:7], v[8:9], v[12:13], -v[6:7]
	v_mul_f64 v[8:9], v[8:9], v[14:15]
	v_mul_f64 v[14:15], v[64:65], s[36:37]
	;; [unrolled: 1-line block ×6, first 2 shown]
	v_accvgpr_write_b32 a28, v52
	v_mul_f64 v[26:27], v[178:179], s[24:25]
	v_mul_f64 v[28:29], v[174:175], s[22:23]
	v_add_f64 v[170:171], v[188:189], -v[146:147]
	v_accvgpr_write_b32 a75, v15
	v_accvgpr_write_b32 a77, v17
	v_accvgpr_write_b32 a79, v19
	v_accvgpr_write_b32 a83, v23
	v_add_f64 v[160:161], v[60:61], v[58:59]
	v_accvgpr_write_b32 a81, v25
	v_add_f64 v[168:169], v[54:55], v[52:53]
	v_accvgpr_write_b32 a29, v53
	v_accvgpr_write_b32 a85, v27
	v_add_f64 v[172:173], v[108:109], v[56:57]
	v_accvgpr_write_b32 a87, v29
	v_add_f64 v[176:177], v[114:115], v[110:111]
	v_mul_f64 v[52:53], v[170:171], s[20:21]
	v_fmac_f64_e32 v[8:9], v[10:11], v[12:13]
	v_fma_f64 v[12:13], s[18:19], v[148:149], v[14:15]
	v_accvgpr_write_b32 a74, v14
	v_fma_f64 v[14:15], s[16:17], v[152:153], v[16:17]
	v_accvgpr_write_b32 a76, v16
	;; [unrolled: 2-line block ×7, first 2 shown]
	v_fma_f64 v[28:29], s[0:1], v[176:177], v[52:53]
	v_add_f64 v[28:29], v[44:45], v[28:29]
	v_add_f64 v[26:27], v[26:27], v[28:29]
	v_add_f64 v[24:25], v[24:25], v[26:27]
	v_add_f64 v[22:23], v[22:23], v[24:25]
	v_add_f64 v[18:19], v[18:19], v[22:23]
	v_add_f64 v[16:17], v[16:17], v[18:19]
	v_mul_f64 v[10:11], v[8:9], v[2:3]
	v_add_f64 v[14:15], v[14:15], v[16:17]
	v_mul_f64 v[2:3], v[6:7], v[2:3]
	v_add_f64 v[12:13], v[12:13], v[14:15]
	v_fmac_f64_e32 v[2:3], v[0:1], v[8:9]
	v_mul_f64 v[206:207], v[102:103], s[2:3]
	v_fma_f64 v[10:11], v[0:1], v[6:7], -v[10:11]
	v_accvgpr_write_b32 a72, v116
	v_mul_f64 v[6:7], v[12:13], v[2:3]
	v_mul_f64 v[0:1], v[4:5], v[2:3]
	;; [unrolled: 1-line block ×3, first 2 shown]
	v_fma_f64 v[14:15], s[46:47], v[194:195], v[206:207]
	v_accvgpr_write_b32 a73, v117
	v_fmac_f64_e32 v[6:7], v[4:5], v[10:11]
	v_fma_f64 v[4:5], v[12:13], v[10:11], -v[0:1]
	v_mul_f64 v[116:117], v[42:43], s[14:15]
	v_fma_f64 v[12:13], s[52:53], v[190:191], v[204:205]
	v_add_f64 v[14:15], v[46:47], v[14:15]
	v_mul_f64 v[96:97], v[40:41], s[18:19]
	v_fma_f64 v[10:11], s[50:51], v[186:187], v[116:117]
	v_add_f64 v[12:13], v[12:13], v[14:15]
	v_accvgpr_write_b32 a70, v106
	v_accvgpr_write_b32 a0, v4
	v_mul_f64 v[100:101], v[38:39], s[16:17]
	v_fma_f64 v[8:9], s[48:49], v[182:183], v[96:97]
	v_add_f64 v[10:11], v[10:11], v[12:13]
	v_accvgpr_write_b32 a71, v107
	v_accvgpr_write_b32 a1, v5
	;; [unrolled: 1-line block ×4, first 2 shown]
	v_mul_f64 v[106:107], v[36:37], s[10:11]
	v_fma_f64 v[6:7], s[34:35], v[144:145], v[100:101]
	v_add_f64 v[8:9], v[8:9], v[10:11]
	v_fma_f64 v[4:5], s[28:29], v[140:141], v[106:107]
	v_add_f64 v[6:7], v[6:7], v[8:9]
	;; [unrolled: 2-line block ×4, first 2 shown]
	v_add_u32_e32 v30, v30, v78
	v_add_f64 v[0:1], v[0:1], v[2:3]
	v_lshrrev_b32_e32 v2, 6, v30
	v_and_b32_e32 v2, 0x1f0, v2
	v_add_u32_e32 v2, s33, v2
	ds_read_b128 v[8:11], v2 offset:1024
	v_and_b32_e32 v2, 31, v30
	v_lshl_add_u32 v2, v2, 4, 0
	ds_read_b128 v[12:15], v2 offset:32368
	v_lshrrev_b32_e32 v2, 1, v30
	v_and_b32_e32 v2, 0x1f0, v2
	v_add_u32_e32 v2, s33, v2
	ds_read_b128 v[16:19], v2 offset:512
	v_accvgpr_write_b32 a89, v53
	v_mul_f64 v[22:23], v[50:51], s[44:45]
	v_mul_f64 v[24:25], v[164:165], s[36:37]
	;; [unrolled: 1-line block ×3, first 2 shown]
	s_waitcnt lgkmcnt(0)
	v_mul_f64 v[2:3], v[14:15], v[18:19]
	v_mul_f64 v[4:5], v[12:13], v[18:19]
	v_fma_f64 v[2:3], v[12:13], v[16:17], -v[2:3]
	v_fmac_f64_e32 v[4:5], v[14:15], v[16:17]
	v_mul_f64 v[14:15], v[64:65], s[38:39]
	v_mul_f64 v[16:17], v[20:21], s[40:41]
	;; [unrolled: 1-line block ×4, first 2 shown]
	v_accvgpr_write_b32 a88, v52
	v_accvgpr_write_b32 a101, v15
	;; [unrolled: 1-line block ×8, first 2 shown]
	v_mul_f64 v[52:53], v[170:171], s[22:23]
	v_fma_f64 v[12:13], s[0:1], v[148:149], v[14:15]
	v_accvgpr_write_b32 a100, v14
	v_fma_f64 v[14:15], s[6:7], v[152:153], v[16:17]
	v_accvgpr_write_b32 a102, v16
	;; [unrolled: 2-line block ×7, first 2 shown]
	v_fma_f64 v[28:29], s[2:3], v[176:177], v[52:53]
	v_add_f64 v[28:29], v[44:45], v[28:29]
	v_add_f64 v[26:27], v[26:27], v[28:29]
	;; [unrolled: 1-line block ×5, first 2 shown]
	v_mul_f64 v[6:7], v[4:5], v[10:11]
	v_add_f64 v[16:17], v[16:17], v[18:19]
	v_fma_f64 v[6:7], v[8:9], v[2:3], -v[6:7]
	v_add_f64 v[14:15], v[14:15], v[16:17]
	v_mul_f64 v[2:3], v[2:3], v[10:11]
	v_add_f64 v[12:13], v[12:13], v[14:15]
	v_fmac_f64_e32 v[2:3], v[8:9], v[4:5]
	v_mul_f64 v[216:217], v[12:13], v[2:3]
	v_mul_f64 v[250:251], v[102:103], s[6:7]
	v_fmac_f64_e32 v[216:217], v[0:1], v[6:7]
	v_mul_f64 v[0:1], v[0:1], v[2:3]
	v_mul_f64 v[248:249], v[166:167], s[14:15]
	v_fma_f64 v[14:15], s[40:41], v[194:195], v[250:251]
	v_fma_f64 v[214:215], v[12:13], v[6:7], -v[0:1]
	v_mul_f64 v[246:247], v[42:43], s[18:19]
	v_fma_f64 v[12:13], s[50:51], v[190:191], v[248:249]
	v_add_f64 v[14:15], v[46:47], v[14:15]
	v_mul_f64 v[244:245], v[40:41], s[10:11]
	v_fma_f64 v[10:11], s[36:37], v[186:187], v[246:247]
	v_add_f64 v[12:13], v[12:13], v[14:15]
	v_fma_f64 v[8:9], s[28:29], v[182:183], v[244:245]
	v_add_f64 v[10:11], v[10:11], v[12:13]
	v_accvgpr_write_b32 a34, v60
	v_fma_f64 v[6:7], s[22:23], v[144:145], v[242:243]
	v_add_f64 v[8:9], v[8:9], v[10:11]
	v_accvgpr_write_b32 a35, v61
	v_mul_f64 v[60:61], v[34:35], s[8:9]
	v_fma_f64 v[4:5], s[38:39], v[140:141], v[240:241]
	v_add_f64 v[6:7], v[6:7], v[8:9]
	v_add_u32_e32 v30, v30, v78
	v_mul_f64 v[62:63], v[32:33], s[16:17]
	v_fma_f64 v[2:3], s[52:53], v[136:137], v[60:61]
	v_add_f64 v[4:5], v[4:5], v[6:7]
	v_and_b32_e32 v6, 31, v30
	v_fma_f64 v[0:1], s[44:45], v[132:133], v[62:63]
	v_add_f64 v[2:3], v[2:3], v[4:5]
	v_lshl_add_u32 v6, v6, 4, 0
	v_add_f64 v[4:5], v[0:1], v[2:3]
	v_lshrrev_b32_e32 v0, 6, v30
	ds_read_b128 v[8:11], v6 offset:32368
	v_lshrrev_b32_e32 v6, 1, v30
	v_and_b32_e32 v0, 0x1f0, v0
	v_and_b32_e32 v6, 0x1f0, v6
	v_add_u32_e32 v0, s33, v0
	v_add_u32_e32 v6, s33, v6
	ds_read_b128 v[0:3], v0 offset:1024
	ds_read_b128 v[12:15], v6 offset:512
	v_accvgpr_write_b32 a115, v53
	v_mul_f64 v[16:17], v[20:21], s[26:27]
	v_mul_f64 v[18:19], v[48:49], s[20:21]
	;; [unrolled: 1-line block ×3, first 2 shown]
	s_waitcnt lgkmcnt(0)
	v_mul_f64 v[6:7], v[10:11], v[14:15]
	v_fma_f64 v[6:7], v[8:9], v[12:13], -v[6:7]
	v_mul_f64 v[8:9], v[8:9], v[14:15]
	v_mul_f64 v[14:15], v[64:65], s[34:35]
	;; [unrolled: 1-line block ×5, first 2 shown]
	v_accvgpr_write_b32 a114, v52
	v_accvgpr_write_b32 a121, v15
	v_accvgpr_write_b32 a123, v17
	v_accvgpr_write_b32 a125, v19
	v_accvgpr_write_b32 a127, v23
	v_accvgpr_write_b32 a129, v25
	v_accvgpr_write_b32 a131, v27
	v_accvgpr_write_b32 a117, v29
	v_mul_f64 v[52:53], v[170:171], s[24:25]
	v_fmac_f64_e32 v[8:9], v[10:11], v[12:13]
	v_fma_f64 v[12:13], s[16:17], v[148:149], v[14:15]
	v_accvgpr_write_b32 a120, v14
	v_fma_f64 v[14:15], s[8:9], v[152:153], v[16:17]
	v_accvgpr_write_b32 a122, v16
	;; [unrolled: 2-line block ×7, first 2 shown]
	v_fma_f64 v[28:29], s[6:7], v[176:177], v[52:53]
	v_add_f64 v[28:29], v[44:45], v[28:29]
	v_add_f64 v[26:27], v[26:27], v[28:29]
	;; [unrolled: 1-line block ×5, first 2 shown]
	v_mul_f64 v[10:11], v[8:9], v[2:3]
	v_add_f64 v[16:17], v[16:17], v[18:19]
	v_mul_f64 v[2:3], v[6:7], v[2:3]
	v_add_f64 v[14:15], v[14:15], v[16:17]
	v_fmac_f64_e32 v[2:3], v[0:1], v[8:9]
	v_mul_f64 v[158:159], v[102:103], s[8:9]
	v_fma_f64 v[10:11], v[0:1], v[6:7], -v[10:11]
	v_add_f64 v[12:13], v[12:13], v[14:15]
	v_mul_f64 v[0:1], v[4:5], v[2:3]
	v_mul_f64 v[154:155], v[166:167], s[18:19]
	v_fma_f64 v[14:15], s[52:53], v[194:195], v[158:159]
	v_mul_f64 v[224:225], v[12:13], v[2:3]
	v_fma_f64 v[222:223], v[12:13], v[10:11], -v[0:1]
	v_mul_f64 v[150:151], v[42:43], s[10:11]
	v_fma_f64 v[12:13], s[48:49], v[190:191], v[154:155]
	v_add_f64 v[14:15], v[46:47], v[14:15]
	v_fmac_f64_e32 v[224:225], v[4:5], v[10:11]
	v_mul_f64 v[74:75], v[40:41], s[0:1]
	v_fma_f64 v[10:11], s[28:29], v[186:187], v[150:151]
	v_add_f64 v[12:13], v[12:13], v[14:15]
	v_fma_f64 v[8:9], s[20:21], v[182:183], v[74:75]
	v_add_f64 v[10:11], v[10:11], v[12:13]
	v_accvgpr_write_b32 a38, v54
	v_fma_f64 v[6:7], s[40:41], v[144:145], v[254:255]
	v_add_f64 v[8:9], v[8:9], v[10:11]
	v_accvgpr_write_b32 a39, v55
	v_accvgpr_write_b32 a119, v53
	v_mul_f64 v[54:55], v[34:35], s[14:15]
	v_fma_f64 v[4:5], s[44:45], v[140:141], v[252:253]
	v_add_f64 v[6:7], v[6:7], v[8:9]
	v_accvgpr_write_b32 a118, v52
	v_mul_f64 v[52:53], v[32:33], s[2:3]
	v_fma_f64 v[2:3], s[30:31], v[136:137], v[54:55]
	v_add_f64 v[4:5], v[4:5], v[6:7]
	v_fma_f64 v[0:1], s[22:23], v[132:133], v[52:53]
	v_add_f64 v[2:3], v[2:3], v[4:5]
	v_add_u32_e32 v30, v30, v78
	v_add_f64 v[0:1], v[0:1], v[2:3]
	v_lshrrev_b32_e32 v2, 6, v30
	v_and_b32_e32 v2, 0x1f0, v2
	v_add_u32_e32 v2, s33, v2
	ds_read_b128 v[8:11], v2 offset:1024
	v_and_b32_e32 v2, 31, v30
	v_lshl_add_u32 v2, v2, 4, 0
	ds_read_b128 v[12:15], v2 offset:32368
	v_lshrrev_b32_e32 v2, 1, v30
	v_and_b32_e32 v2, 0x1f0, v2
	v_add_u32_e32 v2, s33, v2
	ds_read_b128 v[16:19], v2 offset:512
	v_accvgpr_write_b32 a32, v56
	v_mul_f64 v[22:23], v[50:51], s[24:25]
	v_mul_f64 v[24:25], v[164:165], s[38:39]
	;; [unrolled: 1-line block ×3, first 2 shown]
	s_waitcnt lgkmcnt(0)
	v_mul_f64 v[2:3], v[14:15], v[18:19]
	v_mul_f64 v[4:5], v[12:13], v[18:19]
	v_fma_f64 v[2:3], v[12:13], v[16:17], -v[2:3]
	v_fmac_f64_e32 v[4:5], v[14:15], v[16:17]
	v_mul_f64 v[14:15], v[64:65], s[46:47]
	v_mul_f64 v[16:17], v[20:21], s[50:51]
	;; [unrolled: 1-line block ×4, first 2 shown]
	v_accvgpr_write_b32 a33, v57
	v_accvgpr_write_b32 a133, v15
	;; [unrolled: 1-line block ×8, first 2 shown]
	v_mul_f64 v[56:57], v[170:171], s[26:27]
	v_fma_f64 v[12:13], s[2:3], v[148:149], v[14:15]
	v_accvgpr_write_b32 a132, v14
	v_fma_f64 v[14:15], s[14:15], v[152:153], v[16:17]
	v_accvgpr_write_b32 a134, v16
	;; [unrolled: 2-line block ×7, first 2 shown]
	v_fma_f64 v[28:29], s[8:9], v[176:177], v[56:57]
	v_add_f64 v[28:29], v[44:45], v[28:29]
	v_add_f64 v[26:27], v[26:27], v[28:29]
	;; [unrolled: 1-line block ×5, first 2 shown]
	v_mul_f64 v[6:7], v[4:5], v[10:11]
	v_add_f64 v[16:17], v[16:17], v[18:19]
	v_fma_f64 v[6:7], v[8:9], v[2:3], -v[6:7]
	v_add_f64 v[14:15], v[14:15], v[16:17]
	v_mul_f64 v[2:3], v[2:3], v[10:11]
	v_accvgpr_write_b32 a44, v114
	v_add_f64 v[12:13], v[12:13], v[14:15]
	v_fmac_f64_e32 v[2:3], v[8:9], v[4:5]
	v_accvgpr_write_b32 a45, v115
	v_mul_f64 v[114:115], v[12:13], v[2:3]
	v_mul_f64 v[212:213], v[102:103], s[10:11]
	v_accvgpr_write_b32 a66, v112
	v_fmac_f64_e32 v[114:115], v[0:1], v[6:7]
	v_mul_f64 v[0:1], v[0:1], v[2:3]
	v_mul_f64 v[210:211], v[166:167], s[16:17]
	v_fma_f64 v[14:15], s[42:43], v[194:195], v[212:213]
	v_accvgpr_write_b32 a67, v113
	v_fma_f64 v[112:113], v[12:13], v[6:7], -v[0:1]
	v_mul_f64 v[208:209], v[42:43], s[2:3]
	v_fma_f64 v[12:13], s[34:35], v[190:191], v[210:211]
	v_add_f64 v[14:15], v[46:47], v[14:15]
	v_mul_f64 v[120:121], v[40:41], s[6:7]
	v_fma_f64 v[10:11], s[22:23], v[186:187], v[208:209]
	v_add_f64 v[12:13], v[12:13], v[14:15]
	v_accvgpr_write_b32 a36, v110
	v_fma_f64 v[8:9], s[40:41], v[182:183], v[120:121]
	v_add_f64 v[10:11], v[10:11], v[12:13]
	v_accvgpr_write_b32 a42, v108
	v_accvgpr_write_b32 a37, v111
	v_mul_f64 v[110:111], v[36:37], s[8:9]
	v_fma_f64 v[6:7], s[48:49], v[144:145], v[118:119]
	v_add_f64 v[8:9], v[8:9], v[10:11]
	v_accvgpr_write_b32 a62, v104
	v_accvgpr_write_b32 a43, v109
	v_mul_f64 v[108:109], v[34:35], s[0:1]
	v_fma_f64 v[4:5], s[26:27], v[140:141], v[110:111]
	v_add_f64 v[6:7], v[6:7], v[8:9]
	v_add_u32_e32 v30, v30, v78
	v_accvgpr_write_b32 a63, v105
	v_mul_f64 v[104:105], v[32:33], s[14:15]
	v_fma_f64 v[2:3], s[38:39], v[136:137], v[108:109]
	v_add_f64 v[4:5], v[4:5], v[6:7]
	v_and_b32_e32 v6, 31, v30
	v_fma_f64 v[0:1], s[50:51], v[132:133], v[104:105]
	v_add_f64 v[2:3], v[2:3], v[4:5]
	v_lshl_add_u32 v6, v6, 4, 0
	v_add_f64 v[4:5], v[0:1], v[2:3]
	v_lshrrev_b32_e32 v0, 6, v30
	ds_read_b128 v[8:11], v6 offset:32368
	v_lshrrev_b32_e32 v6, 1, v30
	v_and_b32_e32 v0, 0x1f0, v0
	v_and_b32_e32 v6, 0x1f0, v6
	v_add_u32_e32 v0, s33, v0
	v_add_u32_e32 v6, s33, v6
	ds_read_b128 v[0:3], v0 offset:1024
	ds_read_b128 v[12:15], v6 offset:512
	v_accvgpr_write_b32 a147, v57
	v_mul_f64 v[16:17], v[20:21], s[20:21]
	v_mul_f64 v[18:19], v[48:49], s[52:53]
	v_mul_f64 v[22:23], v[50:51], s[36:37]
	s_waitcnt lgkmcnt(0)
	v_mul_f64 v[6:7], v[10:11], v[14:15]
	v_fma_f64 v[6:7], v[8:9], v[12:13], -v[6:7]
	v_mul_f64 v[8:9], v[8:9], v[14:15]
	v_mul_f64 v[14:15], v[64:65], s[30:31]
	;; [unrolled: 1-line block ×5, first 2 shown]
	v_accvgpr_write_b32 a146, v56
	v_accvgpr_write_b32 a149, v15
	;; [unrolled: 1-line block ×8, first 2 shown]
	v_mul_f64 v[56:57], v[170:171], s[28:29]
	v_fmac_f64_e32 v[8:9], v[10:11], v[12:13]
	v_fma_f64 v[12:13], s[14:15], v[148:149], v[14:15]
	v_accvgpr_write_b32 a148, v14
	v_fma_f64 v[14:15], s[0:1], v[152:153], v[16:17]
	v_accvgpr_write_b32 a150, v16
	;; [unrolled: 2-line block ×7, first 2 shown]
	v_fma_f64 v[28:29], s[10:11], v[176:177], v[56:57]
	v_add_f64 v[28:29], v[44:45], v[28:29]
	v_add_f64 v[26:27], v[26:27], v[28:29]
	;; [unrolled: 1-line block ×5, first 2 shown]
	v_mul_f64 v[10:11], v[8:9], v[2:3]
	v_add_f64 v[16:17], v[16:17], v[18:19]
	v_mul_f64 v[2:3], v[6:7], v[2:3]
	v_add_f64 v[14:15], v[14:15], v[16:17]
	v_fmac_f64_e32 v[2:3], v[0:1], v[8:9]
	v_mul_f64 v[122:123], v[102:103], s[14:15]
	v_fma_f64 v[10:11], v[0:1], v[6:7], -v[10:11]
	v_add_f64 v[12:13], v[12:13], v[14:15]
	v_mul_f64 v[0:1], v[4:5], v[2:3]
	v_mul_f64 v[238:239], v[166:167], s[10:11]
	v_fma_f64 v[14:15], s[50:51], v[194:195], v[122:123]
	v_mul_f64 v[198:199], v[12:13], v[2:3]
	v_fma_f64 v[196:197], v[12:13], v[10:11], -v[0:1]
	v_mul_f64 v[236:237], v[42:43], s[0:1]
	v_fma_f64 v[12:13], s[28:29], v[190:191], v[238:239]
	v_add_f64 v[14:15], v[46:47], v[14:15]
	v_fmac_f64_e32 v[198:199], v[4:5], v[10:11]
	v_mul_f64 v[234:235], v[40:41], s[16:17]
	v_fma_f64 v[10:11], s[38:39], v[186:187], v[236:237]
	v_add_f64 v[12:13], v[12:13], v[14:15]
	v_fma_f64 v[8:9], s[44:45], v[182:183], v[234:235]
	v_add_f64 v[10:11], v[10:11], v[12:13]
	;; [unrolled: 2-line block ×6, first 2 shown]
	v_add_u32_e32 v30, v30, v78
	v_add_f64 v[0:1], v[0:1], v[2:3]
	v_lshrrev_b32_e32 v2, 6, v30
	v_and_b32_e32 v2, 0x1f0, v2
	v_add_u32_e32 v2, s33, v2
	ds_read_b128 v[8:11], v2 offset:1024
	v_and_b32_e32 v2, 31, v30
	v_lshl_add_u32 v2, v2, 4, 0
	ds_read_b128 v[12:15], v2 offset:32368
	v_lshrrev_b32_e32 v2, 1, v30
	v_and_b32_e32 v2, 0x1f0, v2
	v_add_u32_e32 v2, s33, v2
	ds_read_b128 v[16:19], v2 offset:512
	v_mul_f64 v[70:71], v[170:171], s[30:31]
	v_mul_f64 v[80:81], v[174:175], s[42:43]
	v_fma_f64 v[28:29], s[14:15], v[176:177], v[70:71]
	v_mul_f64 v[82:83], v[178:179], s[20:21]
	v_fma_f64 v[26:27], s[10:11], v[172:173], v[80:81]
	v_add_f64 v[28:29], v[44:45], v[28:29]
	v_mul_f64 v[84:85], v[164:165], s[34:35]
	v_fma_f64 v[24:25], s[0:1], v[168:169], v[82:83]
	v_add_f64 v[26:27], v[26:27], v[28:29]
	;; [unrolled: 3-line block ×3, first 2 shown]
	s_waitcnt lgkmcnt(0)
	v_mul_f64 v[2:3], v[14:15], v[18:19]
	v_mul_f64 v[4:5], v[12:13], v[18:19]
	;; [unrolled: 1-line block ×3, first 2 shown]
	v_fma_f64 v[18:19], s[8:9], v[162:163], v[86:87]
	v_add_f64 v[22:23], v[22:23], v[24:25]
	v_fma_f64 v[2:3], v[12:13], v[16:17], -v[2:3]
	v_fmac_f64_e32 v[4:5], v[14:15], v[16:17]
	v_mul_f64 v[92:93], v[20:21], s[36:37]
	v_fma_f64 v[16:17], s[2:3], v[156:157], v[90:91]
	v_add_f64 v[18:19], v[18:19], v[22:23]
	v_mul_f64 v[6:7], v[4:5], v[10:11]
	v_mul_f64 v[94:95], v[64:65], s[40:41]
	v_fma_f64 v[14:15], s[18:19], v[152:153], v[92:93]
	v_add_f64 v[16:17], v[16:17], v[18:19]
	v_fma_f64 v[6:7], v[8:9], v[2:3], -v[6:7]
	v_fma_f64 v[12:13], s[6:7], v[148:149], v[94:95]
	v_add_f64 v[14:15], v[14:15], v[16:17]
	v_mul_f64 v[2:3], v[2:3], v[10:11]
	v_accvgpr_write_b32 a60, v98
	v_add_f64 v[12:13], v[12:13], v[14:15]
	v_fmac_f64_e32 v[2:3], v[8:9], v[4:5]
	v_accvgpr_write_b32 a61, v99
	v_mul_f64 v[202:203], v[12:13], v[2:3]
	v_mul_f64 v[98:99], v[102:103], s[16:17]
	v_fmac_f64_e32 v[202:203], v[0:1], v[6:7]
	v_mul_f64 v[0:1], v[0:1], v[2:3]
	v_mul_f64 v[134:135], v[166:167], s[6:7]
	v_fma_f64 v[14:15], s[44:45], v[194:195], v[98:99]
	v_fma_f64 v[200:201], v[12:13], v[6:7], -v[0:1]
	v_mul_f64 v[138:139], v[42:43], s[8:9]
	v_fma_f64 v[12:13], s[24:25], v[190:191], v[134:135]
	v_add_f64 v[14:15], v[46:47], v[14:15]
	v_mul_f64 v[130:131], v[40:41], s[14:15]
	v_fma_f64 v[10:11], s[52:53], v[186:187], v[138:139]
	v_add_f64 v[12:13], v[12:13], v[14:15]
	v_fma_f64 v[8:9], s[30:31], v[182:183], v[130:131]
	v_add_f64 v[10:11], v[10:11], v[12:13]
	;; [unrolled: 2-line block ×4, first 2 shown]
	v_mul_f64 v[24:25], v[32:33], s[10:11]
	v_fma_f64 v[2:3], s[22:23], v[136:137], v[76:77]
	v_add_f64 v[4:5], v[4:5], v[6:7]
	v_fma_f64 v[0:1], s[42:43], v[132:133], v[24:25]
	v_add_f64 v[2:3], v[2:3], v[4:5]
	v_add_u32_e32 v79, v30, v78
	v_add_f64 v[0:1], v[0:1], v[2:3]
	v_lshrrev_b32_e32 v2, 6, v79
	v_and_b32_e32 v2, 0x1f0, v2
	v_add_u32_e32 v2, s33, v2
	ds_read_b128 v[28:31], v2 offset:1024
	v_and_b32_e32 v2, 31, v79
	v_lshl_add_u32 v2, v2, 4, 0
	ds_read_b128 v[8:11], v2 offset:32368
	v_lshrrev_b32_e32 v2, 1, v79
	v_and_b32_e32 v2, 0x1f0, v2
	v_add_u32_e32 v2, s33, v2
	ds_read_b128 v[12:15], v2 offset:512
	v_mul_f64 v[72:73], v[170:171], s[34:35]
	v_fma_f64 v[218:219], s[16:17], v[176:177], v[72:73]
	v_mul_f64 v[16:17], v[178:179], s[26:27]
	v_add_f64 v[218:219], v[44:45], v[218:219]
	s_waitcnt lgkmcnt(0)
	v_mul_f64 v[2:3], v[10:11], v[14:15]
	v_mul_f64 v[4:5], v[8:9], v[14:15]
	;; [unrolled: 1-line block ×3, first 2 shown]
	v_fma_f64 v[68:69], s[6:7], v[172:173], v[14:15]
	v_mul_f64 v[18:19], v[164:165], s[50:51]
	v_fma_f64 v[66:67], s[8:9], v[168:169], v[16:17]
	v_add_f64 v[68:69], v[68:69], v[218:219]
	v_mul_f64 v[22:23], v[50:51], s[20:21]
	v_fma_f64 v[88:89], s[14:15], v[160:161], v[18:19]
	v_add_f64 v[66:67], v[66:67], v[68:69]
	v_accvgpr_write_b32 a163, v57
	v_mul_f64 v[26:27], v[48:49], s[36:37]
	v_fma_f64 v[180:181], s[0:1], v[162:163], v[22:23]
	v_add_f64 v[66:67], v[88:89], v[66:67]
	v_accvgpr_write_b32 a26, v58
	v_accvgpr_write_b32 a162, v56
	v_fma_f64 v[2:3], v[8:9], v[12:13], -v[2:3]
	v_fmac_f64_e32 v[4:5], v[10:11], v[12:13]
	v_mul_f64 v[56:57], v[20:21], s[46:47]
	v_fma_f64 v[12:13], s[18:19], v[156:157], v[26:27]
	v_add_f64 v[66:67], v[180:181], v[66:67]
	v_accvgpr_write_b32 a27, v59
	v_mul_f64 v[6:7], v[4:5], v[30:31]
	v_mul_f64 v[58:59], v[64:65], s[28:29]
	v_fma_f64 v[10:11], s[2:3], v[152:153], v[56:57]
	v_add_f64 v[12:13], v[12:13], v[66:67]
	v_fma_f64 v[6:7], v[28:29], v[2:3], -v[6:7]
	v_fma_f64 v[8:9], s[10:11], v[148:149], v[58:59]
	v_add_f64 v[10:11], v[10:11], v[12:13]
	v_mul_f64 v[2:3], v[2:3], v[30:31]
	v_mul_f64 v[102:103], v[102:103], s[18:19]
	v_add_f64 v[8:9], v[8:9], v[10:11]
	v_fmac_f64_e32 v[2:3], v[28:29], v[4:5]
	v_mul_f64 v[180:181], v[166:167], s[0:1]
	v_fma_f64 v[66:67], s[48:49], v[194:195], v[102:103]
	v_mul_f64 v[30:31], v[8:9], v[2:3]
	v_mul_f64 v[42:43], v[42:43], s[16:17]
	v_fma_f64 v[12:13], s[20:21], v[190:191], v[180:181]
	v_add_f64 v[66:67], v[46:47], v[66:67]
	v_fmac_f64_e32 v[30:31], v[0:1], v[6:7]
	v_mul_f64 v[0:1], v[0:1], v[2:3]
	v_mul_f64 v[40:41], v[40:41], s[2:3]
	v_fma_f64 v[10:11], s[44:45], v[186:187], v[42:43]
	v_add_f64 v[12:13], v[12:13], v[66:67]
	v_fma_f64 v[28:29], v[8:9], v[6:7], -v[0:1]
	v_mul_f64 v[38:39], v[38:39], s[14:15]
	v_fma_f64 v[8:9], s[22:23], v[182:183], v[40:41]
	v_add_f64 v[10:11], v[10:11], v[12:13]
	v_mul_f64 v[36:37], v[36:37], s[6:7]
	v_fma_f64 v[6:7], s[50:51], v[144:145], v[38:39]
	v_add_f64 v[8:9], v[8:9], v[10:11]
	;; [unrolled: 3-line block ×4, first 2 shown]
	v_fma_f64 v[0:1], s[26:27], v[132:133], v[32:33]
	v_add_f64 v[2:3], v[2:3], v[4:5]
	v_add_u32_e32 v79, v79, v78
	v_add_f64 v[12:13], v[0:1], v[2:3]
	v_lshrrev_b32_e32 v0, 6, v79
	v_and_b32_e32 v0, 0x1f0, v0
	v_add_u32_e32 v0, s33, v0
	ds_read_b128 v[8:11], v0 offset:1024
	v_and_b32_e32 v0, 31, v79
	v_lshl_add_u32 v0, v0, 4, 0
	ds_read_b128 v[4:7], v0 offset:32368
	v_lshrrev_b32_e32 v0, 1, v79
	v_and_b32_e32 v0, 0x1f0, v0
	v_add_u32_e32 v0, s33, v0
	v_mul_f64 v[170:171], v[170:171], s[36:37]
	ds_read_b128 v[0:3], v0 offset:512
	v_mul_f64 v[174:175], v[174:175], s[38:39]
	v_fma_f64 v[192:193], s[18:19], v[176:177], v[170:171]
	v_mul_f64 v[178:179], v[178:179], s[34:35]
	v_fma_f64 v[220:221], s[0:1], v[172:173], v[174:175]
	v_add_f64 v[192:193], v[44:45], v[192:193]
	v_mul_f64 v[218:219], v[164:165], s[46:47]
	v_fma_f64 v[166:167], s[16:17], v[168:169], v[178:179]
	v_add_f64 v[192:193], v[220:221], v[192:193]
	;; [unrolled: 3-line block ×4, first 2 shown]
	s_waitcnt lgkmcnt(0)
	v_mul_f64 v[66:67], v[6:7], v[2:3]
	v_mul_f64 v[2:3], v[4:5], v[2:3]
	;; [unrolled: 1-line block ×3, first 2 shown]
	v_fma_f64 v[68:69], s[6:7], v[156:157], v[48:49]
	v_add_f64 v[88:89], v[88:89], v[164:165]
	v_fmac_f64_e32 v[2:3], v[6:7], v[0:1]
	v_mul_f64 v[64:65], v[64:65], s[52:53]
	v_fma_f64 v[6:7], s[10:11], v[152:153], v[20:21]
	v_add_f64 v[68:69], v[68:69], v[88:89]
	v_fma_f64 v[66:67], v[4:5], v[0:1], -v[66:67]
	v_fma_f64 v[4:5], s[8:9], v[148:149], v[64:65]
	v_add_f64 v[6:7], v[6:7], v[68:69]
	v_add_f64 v[4:5], v[4:5], v[6:7]
	v_mul_f64 v[6:7], v[66:67], v[10:11]
	v_mul_f64 v[0:1], v[2:3], v[10:11]
	v_fmac_f64_e32 v[6:7], v[8:9], v[2:3]
	v_fma_f64 v[0:1], v[8:9], v[66:67], -v[0:1]
	v_mul_f64 v[166:167], v[4:5], v[6:7]
	v_mul_f64 v[2:3], v[12:13], v[6:7]
	v_fmac_f64_e32 v[102:103], s[36:37], v[194:195]
	v_fmac_f64_e32 v[166:167], v[12:13], v[0:1]
	v_fma_f64 v[164:165], v[4:5], v[0:1], -v[2:3]
	v_fmac_f64_e32 v[180:181], s[38:39], v[190:191]
	v_add_f64 v[0:1], v[46:47], v[102:103]
	v_fmac_f64_e32 v[42:43], s[34:35], v[186:187]
	v_add_f64 v[0:1], v[180:181], v[0:1]
	v_fmac_f64_e32 v[40:41], s[46:47], v[182:183]
	v_add_f64 v[0:1], v[42:43], v[0:1]
	v_fmac_f64_e32 v[38:39], s[30:31], v[144:145]
	v_add_f64 v[0:1], v[40:41], v[0:1]
	v_fmac_f64_e32 v[36:37], s[40:41], v[140:141]
	v_add_f64 v[0:1], v[38:39], v[0:1]
	v_fmac_f64_e32 v[34:35], s[28:29], v[136:137]
	v_add_f64 v[0:1], v[36:37], v[0:1]
	v_fmac_f64_e32 v[32:33], s[52:53], v[132:133]
	v_add_f64 v[0:1], v[34:35], v[0:1]
	v_add_u32_e32 v66, v79, v78
	v_add_f64 v[12:13], v[32:33], v[0:1]
	v_lshrrev_b32_e32 v0, 6, v66
	v_lshrrev_b32_e32 v8, 1, v66
	v_and_b32_e32 v0, 0x1f0, v0
	v_and_b32_e32 v4, 31, v66
	;; [unrolled: 1-line block ×3, first 2 shown]
	v_add_u32_e32 v0, s33, v0
	v_lshl_add_u32 v4, v4, 4, 0
	v_add_u32_e32 v8, s33, v8
	ds_read_b128 v[0:3], v0 offset:1024
	ds_read_b128 v[4:7], v4 offset:32368
	ds_read_b128 v[8:11], v8 offset:512
	v_fma_f64 v[42:43], v[176:177], s[18:19], -v[170:171]
	v_fma_f64 v[40:41], v[172:173], s[0:1], -v[174:175]
	v_add_f64 v[42:43], v[44:45], v[42:43]
	v_fma_f64 v[38:39], v[168:169], s[16:17], -v[178:179]
	v_add_f64 v[40:41], v[40:41], v[42:43]
	s_waitcnt lgkmcnt(0)
	v_mul_f64 v[32:33], v[6:7], v[10:11]
	v_fma_f64 v[36:37], v[160:161], s[2:3], -v[218:219]
	v_add_f64 v[38:39], v[38:39], v[40:41]
	v_fma_f64 v[32:33], v[4:5], v[8:9], -v[32:33]
	v_mul_f64 v[4:5], v[4:5], v[10:11]
	v_fma_f64 v[34:35], v[162:163], s[14:15], -v[50:51]
	v_add_f64 v[36:37], v[36:37], v[38:39]
	v_fmac_f64_e32 v[4:5], v[6:7], v[8:9]
	v_fma_f64 v[10:11], v[152:153], s[10:11], -v[20:21]
	v_fma_f64 v[20:21], v[156:157], s[6:7], -v[48:49]
	v_add_f64 v[34:35], v[34:35], v[36:37]
	v_mul_f64 v[6:7], v[4:5], v[2:3]
	v_add_f64 v[20:21], v[20:21], v[34:35]
	v_mul_f64 v[2:3], v[32:33], v[2:3]
	v_fma_f64 v[8:9], v[148:149], s[8:9], -v[64:65]
	v_add_f64 v[10:11], v[10:11], v[20:21]
	v_fmac_f64_e32 v[2:3], v[0:1], v[4:5]
	v_fma_f64 v[6:7], v[0:1], v[32:33], -v[6:7]
	v_add_f64 v[8:9], v[8:9], v[10:11]
	v_mul_f64 v[0:1], v[12:13], v[2:3]
	v_fmac_f64_e32 v[98:99], s[34:35], v[194:195]
	v_fma_f64 v[36:37], v[8:9], v[6:7], -v[0:1]
	v_fmac_f64_e32 v[134:135], s[40:41], v[190:191]
	v_add_f64 v[0:1], v[46:47], v[98:99]
	v_fmac_f64_e32 v[138:139], s[26:27], v[186:187]
	v_add_f64 v[0:1], v[134:135], v[0:1]
	;; [unrolled: 2-line block ×6, first 2 shown]
	v_mul_f64 v[38:39], v[8:9], v[2:3]
	v_fmac_f64_e32 v[24:25], s[28:29], v[132:133]
	v_add_f64 v[0:1], v[76:77], v[0:1]
	v_add_u32_e32 v32, v66, v78
	v_fmac_f64_e32 v[38:39], v[12:13], v[6:7]
	v_add_f64 v[12:13], v[24:25], v[0:1]
	v_lshrrev_b32_e32 v0, 6, v32
	v_lshrrev_b32_e32 v8, 1, v32
	v_and_b32_e32 v0, 0x1f0, v0
	v_and_b32_e32 v4, 31, v32
	;; [unrolled: 1-line block ×3, first 2 shown]
	v_add_u32_e32 v0, s33, v0
	v_lshl_add_u32 v4, v4, 4, 0
	v_add_u32_e32 v8, s33, v8
	ds_read_b128 v[0:3], v0 offset:1024
	ds_read_b128 v[4:7], v4 offset:32368
	;; [unrolled: 1-line block ×3, first 2 shown]
	v_fma_f64 v[24:25], v[156:157], s[18:19], -v[26:27]
	v_fma_f64 v[26:27], v[176:177], s[16:17], -v[72:73]
	v_fma_f64 v[14:15], v[172:173], s[6:7], -v[14:15]
	v_add_f64 v[26:27], v[44:45], v[26:27]
	v_fma_f64 v[16:17], v[168:169], s[8:9], -v[16:17]
	v_add_f64 v[14:15], v[14:15], v[26:27]
	s_waitcnt lgkmcnt(0)
	v_mul_f64 v[20:21], v[6:7], v[10:11]
	v_fma_f64 v[18:19], v[160:161], s[14:15], -v[18:19]
	v_add_f64 v[14:15], v[16:17], v[14:15]
	v_fma_f64 v[20:21], v[4:5], v[8:9], -v[20:21]
	v_mul_f64 v[4:5], v[4:5], v[10:11]
	v_fma_f64 v[22:23], v[162:163], s[0:1], -v[22:23]
	v_add_f64 v[14:15], v[18:19], v[14:15]
	v_fmac_f64_e32 v[4:5], v[6:7], v[8:9]
	v_add_f64 v[14:15], v[22:23], v[14:15]
	v_mul_f64 v[6:7], v[4:5], v[2:3]
	v_fma_f64 v[10:11], v[152:153], s[2:3], -v[56:57]
	v_add_f64 v[14:15], v[24:25], v[14:15]
	v_mul_f64 v[2:3], v[20:21], v[2:3]
	v_fma_f64 v[8:9], v[148:149], s[10:11], -v[58:59]
	v_add_f64 v[10:11], v[10:11], v[14:15]
	v_fmac_f64_e32 v[2:3], v[0:1], v[4:5]
	v_fma_f64 v[6:7], v[0:1], v[20:21], -v[6:7]
	v_add_f64 v[8:9], v[8:9], v[10:11]
	v_mul_f64 v[0:1], v[12:13], v[2:3]
	v_fmac_f64_e32 v[122:123], s[30:31], v[194:195]
	v_fma_f64 v[40:41], v[8:9], v[6:7], -v[0:1]
	v_fmac_f64_e32 v[238:239], s[42:43], v[190:191]
	v_add_f64 v[0:1], v[46:47], v[122:123]
	v_fmac_f64_e32 v[236:237], s[20:21], v[186:187]
	v_add_f64 v[0:1], v[238:239], v[0:1]
	;; [unrolled: 2-line block ×6, first 2 shown]
	v_mul_f64 v[42:43], v[8:9], v[2:3]
	v_fmac_f64_e32 v[226:227], s[40:41], v[132:133]
	v_add_f64 v[0:1], v[228:229], v[0:1]
	v_add_u32_e32 v32, v32, v78
	v_fmac_f64_e32 v[42:43], v[12:13], v[6:7]
	v_add_f64 v[12:13], v[226:227], v[0:1]
	v_lshrrev_b32_e32 v0, 6, v32
	v_lshrrev_b32_e32 v8, 1, v32
	v_and_b32_e32 v0, 0x1f0, v0
	v_and_b32_e32 v4, 31, v32
	v_and_b32_e32 v8, 0x1f0, v8
	v_add_u32_e32 v0, s33, v0
	v_lshl_add_u32 v4, v4, 4, 0
	v_add_u32_e32 v8, s33, v8
	ds_read_b128 v[0:3], v0 offset:1024
	ds_read_b128 v[4:7], v4 offset:32368
	;; [unrolled: 1-line block ×3, first 2 shown]
	v_fma_f64 v[26:27], v[176:177], s[14:15], -v[70:71]
	v_fma_f64 v[24:25], v[172:173], s[10:11], -v[80:81]
	v_add_f64 v[26:27], v[44:45], v[26:27]
	v_fma_f64 v[22:23], v[168:169], s[0:1], -v[82:83]
	v_add_f64 v[24:25], v[24:25], v[26:27]
	s_waitcnt lgkmcnt(0)
	v_mul_f64 v[14:15], v[6:7], v[10:11]
	v_fma_f64 v[20:21], v[160:161], s[16:17], -v[84:85]
	v_add_f64 v[22:23], v[22:23], v[24:25]
	v_fma_f64 v[14:15], v[4:5], v[8:9], -v[14:15]
	v_mul_f64 v[4:5], v[4:5], v[10:11]
	v_fma_f64 v[18:19], v[162:163], s[8:9], -v[86:87]
	v_add_f64 v[20:21], v[20:21], v[22:23]
	v_fmac_f64_e32 v[4:5], v[6:7], v[8:9]
	v_fma_f64 v[16:17], v[156:157], s[2:3], -v[90:91]
	v_add_f64 v[18:19], v[18:19], v[20:21]
	v_mul_f64 v[6:7], v[4:5], v[2:3]
	v_fma_f64 v[10:11], v[152:153], s[18:19], -v[92:93]
	v_add_f64 v[16:17], v[16:17], v[18:19]
	v_mul_f64 v[2:3], v[14:15], v[2:3]
	v_fma_f64 v[8:9], v[0:1], v[14:15], -v[6:7]
	v_fma_f64 v[6:7], v[148:149], s[6:7], -v[94:95]
	v_add_f64 v[10:11], v[10:11], v[16:17]
	v_fmac_f64_e32 v[2:3], v[0:1], v[4:5]
	v_add_f64 v[10:11], v[6:7], v[10:11]
	v_mul_f64 v[0:1], v[12:13], v[2:3]
	v_fmac_f64_e32 v[212:213], s[28:29], v[194:195]
	v_fma_f64 v[4:5], v[10:11], v[8:9], -v[0:1]
	v_fmac_f64_e32 v[210:211], s[44:45], v[190:191]
	v_add_f64 v[0:1], v[46:47], v[212:213]
	v_fmac_f64_e32 v[208:209], s[46:47], v[186:187]
	v_add_f64 v[0:1], v[210:211], v[0:1]
	;; [unrolled: 2-line block ×6, first 2 shown]
	v_mul_f64 v[6:7], v[10:11], v[2:3]
	v_fmac_f64_e32 v[104:105], s[30:31], v[132:133]
	v_add_f64 v[0:1], v[108:109], v[0:1]
	v_add_u32_e32 v56, v32, v78
	v_fmac_f64_e32 v[6:7], v[12:13], v[8:9]
	v_add_f64 v[16:17], v[104:105], v[0:1]
	v_lshrrev_b32_e32 v0, 6, v56
	v_lshrrev_b32_e32 v12, 1, v56
	v_and_b32_e32 v0, 0x1f0, v0
	v_and_b32_e32 v8, 31, v56
	;; [unrolled: 1-line block ×3, first 2 shown]
	v_add_u32_e32 v0, s33, v0
	v_lshl_add_u32 v8, v8, 4, 0
	v_add_u32_e32 v12, s33, v12
	ds_read_b128 v[0:3], v0 offset:1024
	ds_read_b128 v[8:11], v8 offset:32368
	;; [unrolled: 1-line block ×3, first 2 shown]
	v_accvgpr_read_b32 v34, a162
	v_accvgpr_read_b32 v32, a160
	;; [unrolled: 1-line block ×5, first 2 shown]
	v_fma_f64 v[34:35], v[176:177], s[10:11], -v[34:35]
	v_accvgpr_read_b32 v24, a156
	v_accvgpr_read_b32 v27, a159
	v_fma_f64 v[32:33], v[172:173], s[16:17], -v[32:33]
	v_add_f64 v[34:35], v[44:45], v[34:35]
	v_accvgpr_read_b32 v22, a154
	v_accvgpr_read_b32 v25, a157
	v_fma_f64 v[26:27], v[168:169], s[2:3], -v[26:27]
	v_add_f64 v[32:33], v[32:33], v[34:35]
	s_waitcnt lgkmcnt(0)
	v_mul_f64 v[18:19], v[10:11], v[14:15]
	v_accvgpr_read_b32 v20, a152
	v_accvgpr_read_b32 v23, a155
	v_fma_f64 v[24:25], v[160:161], s[6:7], -v[24:25]
	v_add_f64 v[26:27], v[26:27], v[32:33]
	v_fma_f64 v[18:19], v[8:9], v[12:13], -v[18:19]
	v_mul_f64 v[8:9], v[8:9], v[14:15]
	v_accvgpr_read_b32 v14, a150
	v_accvgpr_read_b32 v21, a153
	v_fma_f64 v[22:23], v[162:163], s[18:19], -v[22:23]
	v_add_f64 v[24:25], v[24:25], v[26:27]
	v_fmac_f64_e32 v[8:9], v[10:11], v[12:13]
	v_accvgpr_read_b32 v12, a148
	v_accvgpr_read_b32 v15, a151
	v_fma_f64 v[20:21], v[156:157], s[8:9], -v[20:21]
	v_add_f64 v[22:23], v[22:23], v[24:25]
	v_mul_f64 v[10:11], v[8:9], v[2:3]
	v_accvgpr_read_b32 v13, a149
	v_fma_f64 v[14:15], v[152:153], s[0:1], -v[14:15]
	v_add_f64 v[20:21], v[20:21], v[22:23]
	v_mul_f64 v[2:3], v[18:19], v[2:3]
	v_fma_f64 v[12:13], v[148:149], s[14:15], -v[12:13]
	v_add_f64 v[14:15], v[14:15], v[20:21]
	v_fmac_f64_e32 v[2:3], v[0:1], v[8:9]
	v_fma_f64 v[10:11], v[0:1], v[18:19], -v[10:11]
	v_add_f64 v[12:13], v[12:13], v[14:15]
	v_mul_f64 v[0:1], v[16:17], v[2:3]
	v_fmac_f64_e32 v[158:159], s[26:27], v[194:195]
	v_fma_f64 v[48:49], v[12:13], v[10:11], -v[0:1]
	v_fmac_f64_e32 v[154:155], s[36:37], v[190:191]
	v_add_f64 v[0:1], v[46:47], v[158:159]
	v_fmac_f64_e32 v[150:151], s[42:43], v[186:187]
	v_add_f64 v[0:1], v[154:155], v[0:1]
	;; [unrolled: 2-line block ×6, first 2 shown]
	v_mul_f64 v[50:51], v[12:13], v[2:3]
	v_fmac_f64_e32 v[52:53], s[46:47], v[132:133]
	v_add_f64 v[0:1], v[54:55], v[0:1]
	v_add_u32_e32 v56, v56, v78
	v_fmac_f64_e32 v[50:51], v[16:17], v[10:11]
	v_add_f64 v[16:17], v[52:53], v[0:1]
	v_lshrrev_b32_e32 v0, 6, v56
	v_lshrrev_b32_e32 v12, 1, v56
	v_and_b32_e32 v0, 0x1f0, v0
	v_and_b32_e32 v8, 31, v56
	v_and_b32_e32 v12, 0x1f0, v12
	v_add_u32_e32 v0, s33, v0
	v_lshl_add_u32 v8, v8, 4, 0
	v_add_u32_e32 v12, s33, v12
	ds_read_b128 v[0:3], v0 offset:1024
	ds_read_b128 v[8:11], v8 offset:32368
	;; [unrolled: 1-line block ×3, first 2 shown]
	v_accvgpr_read_b32 v34, a146
	v_accvgpr_read_b32 v32, a144
	;; [unrolled: 1-line block ×5, first 2 shown]
	v_fma_f64 v[34:35], v[176:177], s[8:9], -v[34:35]
	v_accvgpr_read_b32 v24, a140
	v_accvgpr_read_b32 v27, a143
	v_fma_f64 v[32:33], v[172:173], s[18:19], -v[32:33]
	v_add_f64 v[34:35], v[44:45], v[34:35]
	v_accvgpr_read_b32 v22, a138
	v_accvgpr_read_b32 v25, a141
	v_fma_f64 v[26:27], v[168:169], s[10:11], -v[26:27]
	v_add_f64 v[32:33], v[32:33], v[34:35]
	s_waitcnt lgkmcnt(0)
	v_mul_f64 v[18:19], v[10:11], v[14:15]
	v_accvgpr_read_b32 v20, a136
	v_accvgpr_read_b32 v23, a139
	v_fma_f64 v[24:25], v[160:161], s[0:1], -v[24:25]
	v_add_f64 v[26:27], v[26:27], v[32:33]
	v_fma_f64 v[18:19], v[8:9], v[12:13], -v[18:19]
	v_mul_f64 v[8:9], v[8:9], v[14:15]
	v_accvgpr_read_b32 v14, a134
	v_accvgpr_read_b32 v21, a137
	v_fma_f64 v[22:23], v[162:163], s[6:7], -v[22:23]
	v_add_f64 v[24:25], v[24:25], v[26:27]
	v_fmac_f64_e32 v[8:9], v[10:11], v[12:13]
	v_accvgpr_read_b32 v12, a132
	v_accvgpr_read_b32 v15, a135
	v_fma_f64 v[20:21], v[156:157], s[16:17], -v[20:21]
	v_add_f64 v[22:23], v[22:23], v[24:25]
	v_accvgpr_read_b32 v13, a133
	v_fma_f64 v[14:15], v[152:153], s[14:15], -v[14:15]
	v_add_f64 v[20:21], v[20:21], v[22:23]
	v_mul_f64 v[10:11], v[8:9], v[2:3]
	v_fma_f64 v[12:13], v[148:149], s[2:3], -v[12:13]
	v_add_f64 v[14:15], v[14:15], v[20:21]
	v_mul_f64 v[2:3], v[18:19], v[2:3]
	v_add_f64 v[12:13], v[12:13], v[14:15]
	v_fmac_f64_e32 v[2:3], v[0:1], v[8:9]
	v_add_u32_e32 v20, v56, v78
	v_fma_f64 v[10:11], v[0:1], v[18:19], -v[10:11]
	v_mul_f64 v[54:55], v[12:13], v[2:3]
	v_mul_f64 v[0:1], v[16:17], v[2:3]
	v_lshrrev_b32_e32 v2, 6, v20
	v_and_b32_e32 v2, 0x1f0, v2
	v_add_u32_e32 v2, s33, v2
	ds_read_b128 v[56:59], v2 offset:1024
	v_and_b32_e32 v2, 31, v20
	v_lshl_add_u32 v2, v2, 4, 0
	v_fmac_f64_e32 v[54:55], v[16:17], v[10:11]
	v_fma_f64 v[52:53], v[12:13], v[10:11], -v[0:1]
	ds_read_b128 v[8:11], v2 offset:32368
	v_lshrrev_b32_e32 v2, 1, v20
	v_and_b32_e32 v2, 0x1f0, v2
	v_add_u32_e32 v2, s33, v2
	ds_read_b128 v[12:15], v2 offset:512
	v_accvgpr_read_b32 v26, a118
	v_accvgpr_read_b32 v24, a116
	v_accvgpr_read_b32 v27, a119
	v_accvgpr_read_b32 v18, a130
	v_accvgpr_read_b32 v25, a117
	v_fma_f64 v[26:27], v[176:177], s[6:7], -v[26:27]
	v_accvgpr_read_b32 v16, a128
	v_accvgpr_read_b32 v19, a131
	v_fma_f64 v[24:25], v[172:173], s[14:15], -v[24:25]
	v_add_f64 v[26:27], v[44:45], v[26:27]
	v_fmac_f64_e32 v[250:251], s[24:25], v[194:195]
	s_waitcnt lgkmcnt(0)
	v_mul_f64 v[2:3], v[10:11], v[14:15]
	v_mul_f64 v[70:71], v[8:9], v[14:15]
	v_accvgpr_read_b32 v14, a126
	v_accvgpr_read_b32 v17, a129
	v_fma_f64 v[18:19], v[168:169], s[18:19], -v[18:19]
	v_add_f64 v[24:25], v[24:25], v[26:27]
	v_fmac_f64_e32 v[248:249], s[30:31], v[190:191]
	v_add_f64 v[0:1], v[46:47], v[250:251]
	v_fma_f64 v[22:23], v[8:9], v[12:13], -v[2:3]
	v_fmac_f64_e32 v[70:71], v[10:11], v[12:13]
	v_accvgpr_read_b32 v12, a124
	v_accvgpr_read_b32 v15, a127
	v_fma_f64 v[16:17], v[160:161], s[10:11], -v[16:17]
	v_add_f64 v[18:19], v[18:19], v[24:25]
	v_fmac_f64_e32 v[246:247], s[48:49], v[186:187]
	v_add_f64 v[0:1], v[248:249], v[0:1]
	v_accvgpr_read_b32 v10, a122
	v_accvgpr_read_b32 v13, a125
	v_fma_f64 v[14:15], v[162:163], s[2:3], -v[14:15]
	v_add_f64 v[16:17], v[16:17], v[18:19]
	v_fmac_f64_e32 v[244:245], s[42:43], v[182:183]
	v_add_f64 v[0:1], v[246:247], v[0:1]
	v_accvgpr_read_b32 v8, a120
	v_accvgpr_read_b32 v11, a123
	v_fma_f64 v[12:13], v[156:157], s[0:1], -v[12:13]
	v_add_f64 v[14:15], v[14:15], v[16:17]
	v_fmac_f64_e32 v[242:243], s[46:47], v[144:145]
	v_add_f64 v[0:1], v[244:245], v[0:1]
	v_accvgpr_read_b32 v9, a121
	v_fma_f64 v[10:11], v[152:153], s[8:9], -v[10:11]
	v_add_f64 v[12:13], v[12:13], v[14:15]
	v_fmac_f64_e32 v[240:241], s[20:21], v[140:141]
	v_add_f64 v[0:1], v[242:243], v[0:1]
	v_fma_f64 v[8:9], v[148:149], s[16:17], -v[8:9]
	v_add_f64 v[10:11], v[10:11], v[12:13]
	v_fmac_f64_e32 v[60:61], s[26:27], v[136:137]
	v_add_f64 v[0:1], v[240:241], v[0:1]
	v_add_f64 v[8:9], v[8:9], v[10:11]
	v_mul_f64 v[10:11], v[22:23], v[58:59]
	v_fmac_f64_e32 v[62:63], s[34:35], v[132:133]
	v_add_f64 v[0:1], v[60:61], v[0:1]
	v_mul_f64 v[2:3], v[70:71], v[58:59]
	v_fmac_f64_e32 v[10:11], v[56:57], v[70:71]
	v_add_f64 v[0:1], v[62:63], v[0:1]
	v_fma_f64 v[2:3], v[56:57], v[22:23], -v[2:3]
	v_mul_f64 v[58:59], v[8:9], v[10:11]
	v_fmac_f64_e32 v[58:59], v[0:1], v[2:3]
	v_mul_f64 v[0:1], v[0:1], v[10:11]
	v_fmac_f64_e32 v[206:207], s[22:23], v[194:195]
	v_fma_f64 v[56:57], v[8:9], v[2:3], -v[0:1]
	v_fmac_f64_e32 v[204:205], s[26:27], v[190:191]
	v_add_f64 v[0:1], v[46:47], v[206:207]
	v_fmac_f64_e32 v[116:117], s[30:31], v[186:187]
	v_add_f64 v[0:1], v[204:205], v[0:1]
	;; [unrolled: 2-line block ×7, first 2 shown]
	v_add_u32_e32 v64, v20, v78
	v_add_f64 v[16:17], v[142:143], v[0:1]
	v_lshrrev_b32_e32 v0, 6, v64
	v_lshrrev_b32_e32 v12, 1, v64
	v_and_b32_e32 v0, 0x1f0, v0
	v_and_b32_e32 v8, 31, v64
	;; [unrolled: 1-line block ×3, first 2 shown]
	v_add_u32_e32 v0, s33, v0
	v_lshl_add_u32 v8, v8, 4, 0
	v_add_u32_e32 v12, s33, v12
	ds_read_b128 v[0:3], v0 offset:1024
	ds_read_b128 v[8:11], v8 offset:32368
	ds_read_b128 v[12:15], v12 offset:512
	v_accvgpr_read_b32 v34, a114
	v_accvgpr_read_b32 v32, a112
	;; [unrolled: 1-line block ×5, first 2 shown]
	v_fma_f64 v[34:35], v[176:177], s[2:3], -v[34:35]
	v_accvgpr_read_b32 v24, a108
	v_accvgpr_read_b32 v27, a111
	v_fma_f64 v[32:33], v[172:173], s[8:9], -v[32:33]
	v_add_f64 v[34:35], v[44:45], v[34:35]
	v_accvgpr_read_b32 v22, a106
	v_accvgpr_read_b32 v25, a109
	v_fma_f64 v[26:27], v[168:169], s[14:15], -v[26:27]
	v_add_f64 v[32:33], v[32:33], v[34:35]
	s_waitcnt lgkmcnt(0)
	v_mul_f64 v[18:19], v[10:11], v[14:15]
	v_accvgpr_read_b32 v20, a104
	v_accvgpr_read_b32 v23, a107
	v_fma_f64 v[24:25], v[160:161], s[18:19], -v[24:25]
	v_add_f64 v[26:27], v[26:27], v[32:33]
	v_fma_f64 v[18:19], v[8:9], v[12:13], -v[18:19]
	v_mul_f64 v[8:9], v[8:9], v[14:15]
	v_accvgpr_read_b32 v14, a102
	v_accvgpr_read_b32 v21, a105
	v_fma_f64 v[22:23], v[162:163], s[16:17], -v[22:23]
	v_add_f64 v[24:25], v[24:25], v[26:27]
	v_fmac_f64_e32 v[8:9], v[10:11], v[12:13]
	v_accvgpr_read_b32 v12, a100
	v_accvgpr_read_b32 v15, a103
	v_fma_f64 v[20:21], v[156:157], s[10:11], -v[20:21]
	v_add_f64 v[22:23], v[22:23], v[24:25]
	v_mul_f64 v[10:11], v[8:9], v[2:3]
	v_accvgpr_read_b32 v13, a101
	v_fma_f64 v[14:15], v[152:153], s[6:7], -v[14:15]
	v_add_f64 v[20:21], v[20:21], v[22:23]
	v_mul_f64 v[2:3], v[18:19], v[2:3]
	v_fma_f64 v[12:13], v[148:149], s[0:1], -v[12:13]
	v_add_f64 v[14:15], v[14:15], v[20:21]
	v_fmac_f64_e32 v[2:3], v[0:1], v[8:9]
	v_fma_f64 v[10:11], v[0:1], v[18:19], -v[10:11]
	v_add_f64 v[12:13], v[12:13], v[14:15]
	v_mul_f64 v[0:1], v[16:17], v[2:3]
	v_add_u32_e32 v8, v64, v78
	v_fma_f64 v[60:61], v[12:13], v[10:11], -v[0:1]
	v_lshrrev_b32_e32 v0, 6, v8
	v_and_b32_e32 v0, 0x1f0, v0
	v_mul_f64 v[62:63], v[12:13], v[2:3]
	v_add_u32_e32 v0, s33, v0
	v_fmac_f64_e32 v[62:63], v[16:17], v[10:11]
	ds_read_b128 v[10:13], v0 offset:1024
	v_and_b32_e32 v0, 31, v8
	v_lshrrev_b32_e32 v8, 1, v8
	v_and_b32_e32 v8, 0x1f0, v8
	v_lshl_add_u32 v0, v0, 4, 0
	v_add_u32_e32 v8, s33, v8
	ds_read_b128 v[0:3], v0 offset:32368
	ds_read_b128 v[14:17], v8 offset:512
	v_accvgpr_read_b32 v32, a96
	v_accvgpr_read_b32 v26, a92
	;; [unrolled: 1-line block ×4, first 2 shown]
	s_waitcnt lgkmcnt(0)
	v_mul_f64 v[8:9], v[2:3], v[16:17]
	v_mul_f64 v[16:17], v[0:1], v[16:17]
	v_fmac_f64_e32 v[16:17], v[2:3], v[14:15]
	v_accvgpr_read_b32 v2, a98
	v_accvgpr_read_b32 v3, a99
	v_fmac_f64_e32 v[2:3], s[20:21], v[194:195]
	v_accvgpr_read_b32 v27, a93
	v_fmac_f64_e32 v[32:33], s[22:23], v[190:191]
	v_add_f64 v[2:3], v[46:47], v[2:3]
	v_accvgpr_read_b32 v23, a11
	v_accvgpr_read_b32 v25, a91
	v_fmac_f64_e32 v[26:27], s[24:25], v[186:187]
	v_add_f64 v[2:3], v[32:33], v[2:3]
	v_accvgpr_read_b32 v21, a9
	;; [unrolled: 4-line block ×5, first 2 shown]
	v_accvgpr_read_b32 v25, a89
	v_fma_f64 v[8:9], v[0:1], v[14:15], -v[8:9]
	v_mul_f64 v[0:1], v[16:17], v[12:13]
	v_accvgpr_read_b32 v15, a5
	v_fmac_f64_e32 v[18:19], s[34:35], v[136:137]
	v_add_f64 v[2:3], v[20:21], v[2:3]
	v_accvgpr_read_b32 v20, a84
	v_accvgpr_read_b32 v23, a87
	v_fma_f64 v[24:25], v[176:177], s[0:1], -v[24:25]
	v_fma_f64 v[0:1], v[10:11], v[8:9], -v[0:1]
	v_accvgpr_read_b32 v14, a4
	v_add_f64 v[2:3], v[18:19], v[2:3]
	v_mul_f64 v[8:9], v[8:9], v[12:13]
	v_accvgpr_read_b32 v18, a80
	v_accvgpr_read_b32 v21, a85
	v_fma_f64 v[22:23], v[172:173], s[2:3], -v[22:23]
	v_add_f64 v[24:25], v[44:45], v[24:25]
	v_fmac_f64_e32 v[14:15], s[36:37], v[132:133]
	v_fmac_f64_e32 v[8:9], v[10:11], v[16:17]
	v_accvgpr_read_b32 v16, a82
	v_accvgpr_read_b32 v19, a81
	v_fma_f64 v[20:21], v[168:169], s[6:7], -v[20:21]
	v_add_f64 v[22:23], v[22:23], v[24:25]
	v_add_f64 v[2:3], v[14:15], v[2:3]
	v_accvgpr_read_b32 v14, a78
	v_accvgpr_read_b32 v17, a83
	v_fma_f64 v[18:19], v[160:161], s[8:9], -v[18:19]
	v_add_f64 v[20:21], v[20:21], v[22:23]
	v_accvgpr_read_b32 v12, a76
	v_accvgpr_read_b32 v15, a79
	v_fma_f64 v[16:17], v[162:163], s[10:11], -v[16:17]
	;; [unrolled: 4-line block ×3, first 2 shown]
	v_add_f64 v[16:17], v[16:17], v[18:19]
	v_accvgpr_read_b32 v11, a75
	v_fma_f64 v[12:13], v[152:153], s[16:17], -v[12:13]
	v_add_f64 v[14:15], v[14:15], v[16:17]
	v_fma_f64 v[10:11], v[148:149], s[18:19], -v[10:11]
	v_add_f64 v[12:13], v[12:13], v[14:15]
	v_add_f64 v[12:13], v[10:11], v[12:13]
	v_mul_f64 v[10:11], v[8:9], v[12:13]
	v_fmac_f64_e32 v[10:11], v[0:1], v[2:3]
	v_mul_f64 v[2:3], v[8:9], v[2:3]
	v_accvgpr_read_b32 v14, a72
	v_fma_f64 v[8:9], v[0:1], v[12:13], -v[2:3]
	v_add_f64 v[12:13], v[46:47], v[188:189]
	v_accvgpr_read_b32 v15, a73
	v_add_f64 v[12:13], v[12:13], v[14:15]
	v_accvgpr_read_b32 v14, a70
	v_accvgpr_read_b32 v15, a71
	v_add_f64 v[12:13], v[12:13], v[14:15]
	v_accvgpr_read_b32 v14, a68
	;; [unrolled: 3-line block ×12, first 2 shown]
	v_accvgpr_read_b32 v15, a63
	v_add_u32_e32 v2, s13, v184
	v_add_f64 v[12:13], v[12:13], v[14:15]
	v_accvgpr_read_b32 v14, a66
	v_mad_u64_u32 v[0:1], s[0:1], s12, v185, v[2:3]
	v_accvgpr_read_b32 v15, a67
	v_mov_b32_e32 v1, 0
	v_add_f64 v[12:13], v[12:13], v[14:15]
	v_lshl_add_u64 v[24:25], v[0:1], 4, s[4:5]
	v_add_f64 v[26:27], v[12:13], v[146:147]
	v_accvgpr_read_b32 v0, a40
	v_accvgpr_read_b32 v12, a94
	v_mul_lo_u32 v0, v0, v12
	v_lshrrev_b32_e32 v3, 6, v0
	v_and_b32_e32 v3, 0x1f0, v3
	v_add_u32_e32 v3, s33, v3
	ds_read_b128 v[12:15], v3 offset:1024
	v_and_b32_e32 v3, 31, v0
	v_lshrrev_b32_e32 v0, 1, v0
	v_and_b32_e32 v0, 0x1f0, v0
	v_lshl_add_u32 v3, v3, 4, 0
	v_add_u32_e32 v0, s33, v0
	ds_read_b128 v[16:19], v3 offset:32368
	ds_read_b128 v[20:23], v0 offset:512
	v_add_u32_e32 v0, 17, v185
	s_waitcnt lgkmcnt(0)
	v_mul_f64 v[32:33], v[18:19], v[22:23]
	v_fma_f64 v[32:33], v[16:17], v[20:21], -v[32:33]
	v_mul_f64 v[16:17], v[16:17], v[22:23]
	v_fmac_f64_e32 v[16:17], v[20:21], v[18:19]
	v_accvgpr_read_b32 v20, a44
	v_accvgpr_read_b32 v21, a45
	;; [unrolled: 1-line block ×3, first 2 shown]
	v_add_f64 v[20:21], v[44:45], v[20:21]
	v_accvgpr_read_b32 v23, a43
	v_add_f64 v[20:21], v[20:21], v[22:23]
	v_accvgpr_read_b32 v22, a38
	v_accvgpr_read_b32 v23, a39
	v_add_f64 v[20:21], v[20:21], v[22:23]
	v_accvgpr_read_b32 v22, a34
	;; [unrolled: 3-line block ×14, first 2 shown]
	v_accvgpr_read_b32 v23, a37
	v_add_f64 v[20:21], v[20:21], v[22:23]
	v_mul_f64 v[22:23], v[14:15], v[32:33]
	v_mul_f64 v[18:19], v[14:15], v[16:17]
	v_fmac_f64_e32 v[22:23], v[12:13], v[16:17]
	v_fma_f64 v[18:19], v[12:13], v[32:33], -v[18:19]
	v_mul_f64 v[14:15], v[20:21], v[22:23]
	v_mul_f64 v[12:13], v[26:27], v[22:23]
	v_fmac_f64_e32 v[14:15], v[26:27], v[18:19]
	v_fma_f64 v[12:13], v[20:21], v[18:19], -v[12:13]
	global_store_dwordx4 v[24:25], v[12:15], off
	s_nop 1
	v_mad_u64_u32 v[12:13], s[0:1], s12, v0, v[2:3]
	v_mov_b32_e32 v13, v1
	v_lshl_add_u64 v[12:13], v[12:13], 4, s[4:5]
	v_add_u32_e32 v0, 34, v185
	global_store_dwordx4 v[12:13], v[8:11], off
	s_nop 1
	v_mad_u64_u32 v[8:9], s[0:1], s12, v0, v[2:3]
	v_mov_b32_e32 v9, v1
	v_lshl_add_u64 v[8:9], v[8:9], 4, s[4:5]
	v_add_u32_e32 v0, 51, v185
	global_store_dwordx4 v[8:9], v[60:63], off
	v_mad_u64_u32 v[8:9], s[0:1], s12, v0, v[2:3]
	v_mov_b32_e32 v9, v1
	v_lshl_add_u64 v[8:9], v[8:9], 4, s[4:5]
	v_add_u32_e32 v0, 0x44, v185
	global_store_dwordx4 v[8:9], v[56:59], off
	;; [unrolled: 5-line block ×5, first 2 shown]
	s_nop 1
	v_mad_u64_u32 v[4:5], s[0:1], s12, v0, v[2:3]
	v_mov_b32_e32 v5, v1
	v_lshl_add_u64 v[4:5], v[4:5], 4, s[4:5]
	v_add_u32_e32 v0, 0x88, v185
	global_store_dwordx4 v[4:5], v[40:43], off
	v_mad_u64_u32 v[4:5], s[0:1], s12, v0, v[2:3]
	v_mov_b32_e32 v5, v1
	v_lshl_add_u64 v[4:5], v[4:5], 4, s[4:5]
	v_add_u32_e32 v0, 0x99, v185
	global_store_dwordx4 v[4:5], v[36:39], off
	;; [unrolled: 5-line block ×8, first 2 shown]
	v_mad_u64_u32 v[4:5], s[0:1], s12, v0, v[2:3]
	v_add_u32_e32 v0, 0x110, v185
	v_mad_u64_u32 v[2:3], s[0:1], s12, v0, v[2:3]
	v_mov_b32_e32 v5, v1
	v_mov_b32_e32 v3, v1
	v_lshl_add_u64 v[4:5], v[4:5], 4, s[4:5]
	v_lshl_add_u64 v[0:1], v[2:3], 4, s[4:5]
	global_store_dwordx4 v[4:5], v[214:217], off
	global_store_dwordx4 v[0:1], a[0:3], off
.LBB0_50:
	s_endpgm
	.section	.rodata,"a",@progbits
	.p2align	6, 0x0
	.amdhsa_kernel fft_rtc_fwd_len289_factors_17_17_wgs_119_tpt_17_dp_ip_CI_sbcc_twdbase5_3step_dirReg_intrinsicReadWrite
		.amdhsa_group_segment_fixed_size 0
		.amdhsa_private_segment_fixed_size 0
		.amdhsa_kernarg_size 96
		.amdhsa_user_sgpr_count 2
		.amdhsa_user_sgpr_dispatch_ptr 0
		.amdhsa_user_sgpr_queue_ptr 0
		.amdhsa_user_sgpr_kernarg_segment_ptr 1
		.amdhsa_user_sgpr_dispatch_id 0
		.amdhsa_user_sgpr_kernarg_preload_length 0
		.amdhsa_user_sgpr_kernarg_preload_offset 0
		.amdhsa_user_sgpr_private_segment_size 0
		.amdhsa_uses_dynamic_stack 0
		.amdhsa_enable_private_segment 0
		.amdhsa_system_sgpr_workgroup_id_x 1
		.amdhsa_system_sgpr_workgroup_id_y 0
		.amdhsa_system_sgpr_workgroup_id_z 0
		.amdhsa_system_sgpr_workgroup_info 0
		.amdhsa_system_vgpr_workitem_id 0
		.amdhsa_next_free_vgpr 420
		.amdhsa_next_free_sgpr 60
		.amdhsa_accum_offset 256
		.amdhsa_reserve_vcc 1
		.amdhsa_float_round_mode_32 0
		.amdhsa_float_round_mode_16_64 0
		.amdhsa_float_denorm_mode_32 3
		.amdhsa_float_denorm_mode_16_64 3
		.amdhsa_dx10_clamp 1
		.amdhsa_ieee_mode 1
		.amdhsa_fp16_overflow 0
		.amdhsa_tg_split 0
		.amdhsa_exception_fp_ieee_invalid_op 0
		.amdhsa_exception_fp_denorm_src 0
		.amdhsa_exception_fp_ieee_div_zero 0
		.amdhsa_exception_fp_ieee_overflow 0
		.amdhsa_exception_fp_ieee_underflow 0
		.amdhsa_exception_fp_ieee_inexact 0
		.amdhsa_exception_int_div_zero 0
	.end_amdhsa_kernel
	.text
.Lfunc_end0:
	.size	fft_rtc_fwd_len289_factors_17_17_wgs_119_tpt_17_dp_ip_CI_sbcc_twdbase5_3step_dirReg_intrinsicReadWrite, .Lfunc_end0-fft_rtc_fwd_len289_factors_17_17_wgs_119_tpt_17_dp_ip_CI_sbcc_twdbase5_3step_dirReg_intrinsicReadWrite
                                        ; -- End function
	.section	.AMDGPU.csdata,"",@progbits
; Kernel info:
; codeLenInByte = 20892
; NumSgprs: 66
; NumVgprs: 256
; NumAgprs: 164
; TotalNumVgprs: 420
; ScratchSize: 0
; MemoryBound: 0
; FloatMode: 240
; IeeeMode: 1
; LDSByteSize: 0 bytes/workgroup (compile time only)
; SGPRBlocks: 8
; VGPRBlocks: 52
; NumSGPRsForWavesPerEU: 66
; NumVGPRsForWavesPerEU: 420
; AccumOffset: 256
; Occupancy: 1
; WaveLimiterHint : 1
; COMPUTE_PGM_RSRC2:SCRATCH_EN: 0
; COMPUTE_PGM_RSRC2:USER_SGPR: 2
; COMPUTE_PGM_RSRC2:TRAP_HANDLER: 0
; COMPUTE_PGM_RSRC2:TGID_X_EN: 1
; COMPUTE_PGM_RSRC2:TGID_Y_EN: 0
; COMPUTE_PGM_RSRC2:TGID_Z_EN: 0
; COMPUTE_PGM_RSRC2:TIDIG_COMP_CNT: 0
; COMPUTE_PGM_RSRC3_GFX90A:ACCUM_OFFSET: 63
; COMPUTE_PGM_RSRC3_GFX90A:TG_SPLIT: 0
	.text
	.p2alignl 6, 3212836864
	.fill 256, 4, 3212836864
	.type	__hip_cuid_b8220313e354665b,@object ; @__hip_cuid_b8220313e354665b
	.section	.bss,"aw",@nobits
	.globl	__hip_cuid_b8220313e354665b
__hip_cuid_b8220313e354665b:
	.byte	0                               ; 0x0
	.size	__hip_cuid_b8220313e354665b, 1

	.ident	"AMD clang version 19.0.0git (https://github.com/RadeonOpenCompute/llvm-project roc-6.4.0 25133 c7fe45cf4b819c5991fe208aaa96edf142730f1d)"
	.section	".note.GNU-stack","",@progbits
	.addrsig
	.addrsig_sym __hip_cuid_b8220313e354665b
	.amdgpu_metadata
---
amdhsa.kernels:
  - .agpr_count:     164
    .args:
      - .actual_access:  read_only
        .address_space:  global
        .offset:         0
        .size:           8
        .value_kind:     global_buffer
      - .address_space:  global
        .offset:         8
        .size:           8
        .value_kind:     global_buffer
      - .offset:         16
        .size:           8
        .value_kind:     by_value
      - .actual_access:  read_only
        .address_space:  global
        .offset:         24
        .size:           8
        .value_kind:     global_buffer
      - .actual_access:  read_only
        .address_space:  global
        .offset:         32
        .size:           8
        .value_kind:     global_buffer
      - .offset:         40
        .size:           8
        .value_kind:     by_value
      - .actual_access:  read_only
        .address_space:  global
        .offset:         48
        .size:           8
        .value_kind:     global_buffer
      - .actual_access:  read_only
        .address_space:  global
        .offset:         56
        .size:           8
        .value_kind:     global_buffer
      - .offset:         64
        .size:           4
        .value_kind:     by_value
      - .actual_access:  read_only
        .address_space:  global
        .offset:         72
        .size:           8
        .value_kind:     global_buffer
      - .actual_access:  read_only
        .address_space:  global
        .offset:         80
        .size:           8
        .value_kind:     global_buffer
      - .address_space:  global
        .offset:         88
        .size:           8
        .value_kind:     global_buffer
    .group_segment_fixed_size: 0
    .kernarg_segment_align: 8
    .kernarg_segment_size: 96
    .language:       OpenCL C
    .language_version:
      - 2
      - 0
    .max_flat_workgroup_size: 119
    .name:           fft_rtc_fwd_len289_factors_17_17_wgs_119_tpt_17_dp_ip_CI_sbcc_twdbase5_3step_dirReg_intrinsicReadWrite
    .private_segment_fixed_size: 0
    .sgpr_count:     66
    .sgpr_spill_count: 0
    .symbol:         fft_rtc_fwd_len289_factors_17_17_wgs_119_tpt_17_dp_ip_CI_sbcc_twdbase5_3step_dirReg_intrinsicReadWrite.kd
    .uniform_work_group_size: 1
    .uses_dynamic_stack: false
    .vgpr_count:     420
    .vgpr_spill_count: 0
    .wavefront_size: 64
amdhsa.target:   amdgcn-amd-amdhsa--gfx950
amdhsa.version:
  - 1
  - 2
...

	.end_amdgpu_metadata
